;; amdgpu-corpus repo=ROCm/rocFFT kind=compiled arch=gfx1030 opt=O3
	.text
	.amdgcn_target "amdgcn-amd-amdhsa--gfx1030"
	.amdhsa_code_object_version 6
	.protected	fft_rtc_back_len3456_factors_6_6_6_4_4_wgs_144_tpt_144_halfLds_dp_op_CI_CI_sbrr_dirReg ; -- Begin function fft_rtc_back_len3456_factors_6_6_6_4_4_wgs_144_tpt_144_halfLds_dp_op_CI_CI_sbrr_dirReg
	.globl	fft_rtc_back_len3456_factors_6_6_6_4_4_wgs_144_tpt_144_halfLds_dp_op_CI_CI_sbrr_dirReg
	.p2align	8
	.type	fft_rtc_back_len3456_factors_6_6_6_4_4_wgs_144_tpt_144_halfLds_dp_op_CI_CI_sbrr_dirReg,@function
fft_rtc_back_len3456_factors_6_6_6_4_4_wgs_144_tpt_144_halfLds_dp_op_CI_CI_sbrr_dirReg: ; @fft_rtc_back_len3456_factors_6_6_6_4_4_wgs_144_tpt_144_halfLds_dp_op_CI_CI_sbrr_dirReg
; %bb.0:
	s_clause 0x2
	s_load_dwordx4 s[16:19], s[4:5], 0x18
	s_load_dwordx4 s[12:15], s[4:5], 0x0
	;; [unrolled: 1-line block ×3, first 2 shown]
	v_mul_u32_u24_e32 v2, 0x1c8, v0
	v_mov_b32_e32 v1, 0
	v_mov_b32_e32 v4, 0
	;; [unrolled: 1-line block ×3, first 2 shown]
	s_waitcnt lgkmcnt(0)
	s_load_dwordx2 s[20:21], s[16:17], 0x0
	s_load_dwordx2 s[2:3], s[18:19], 0x0
	v_cmp_lt_u64_e64 s0, s[14:15], 2
	v_add_nc_u32_sdwa v6, s6, v2 dst_sel:DWORD dst_unused:UNUSED_PAD src0_sel:DWORD src1_sel:WORD_1
	v_mov_b32_e32 v7, v1
	s_and_b32 vcc_lo, exec_lo, s0
	s_cbranch_vccnz .LBB0_8
; %bb.1:
	s_load_dwordx2 s[0:1], s[4:5], 0x10
	v_mov_b32_e32 v4, 0
	v_mov_b32_e32 v5, 0
	s_add_u32 s6, s18, 8
	s_addc_u32 s7, s19, 0
	s_add_u32 s22, s16, 8
	s_addc_u32 s23, s17, 0
	v_mov_b32_e32 v117, v5
	v_mov_b32_e32 v116, v4
	s_mov_b64 s[26:27], 1
	s_waitcnt lgkmcnt(0)
	s_add_u32 s24, s0, 8
	s_addc_u32 s25, s1, 0
.LBB0_2:                                ; =>This Inner Loop Header: Depth=1
	s_load_dwordx2 s[28:29], s[24:25], 0x0
                                        ; implicit-def: $vgpr118_vgpr119
	s_mov_b32 s0, exec_lo
	s_waitcnt lgkmcnt(0)
	v_or_b32_e32 v2, s29, v7
	v_cmpx_ne_u64_e32 0, v[1:2]
	s_xor_b32 s1, exec_lo, s0
	s_cbranch_execz .LBB0_4
; %bb.3:                                ;   in Loop: Header=BB0_2 Depth=1
	v_cvt_f32_u32_e32 v2, s28
	v_cvt_f32_u32_e32 v3, s29
	s_sub_u32 s0, 0, s28
	s_subb_u32 s30, 0, s29
	v_fmac_f32_e32 v2, 0x4f800000, v3
	v_rcp_f32_e32 v2, v2
	v_mul_f32_e32 v2, 0x5f7ffffc, v2
	v_mul_f32_e32 v3, 0x2f800000, v2
	v_trunc_f32_e32 v3, v3
	v_fmac_f32_e32 v2, 0xcf800000, v3
	v_cvt_u32_f32_e32 v3, v3
	v_cvt_u32_f32_e32 v2, v2
	v_mul_lo_u32 v8, s0, v3
	v_mul_hi_u32 v9, s0, v2
	v_mul_lo_u32 v10, s30, v2
	v_add_nc_u32_e32 v8, v9, v8
	v_mul_lo_u32 v9, s0, v2
	v_add_nc_u32_e32 v8, v8, v10
	v_mul_hi_u32 v10, v2, v9
	v_mul_lo_u32 v11, v2, v8
	v_mul_hi_u32 v12, v2, v8
	v_mul_hi_u32 v13, v3, v9
	v_mul_lo_u32 v9, v3, v9
	v_mul_hi_u32 v14, v3, v8
	v_mul_lo_u32 v8, v3, v8
	v_add_co_u32 v10, vcc_lo, v10, v11
	v_add_co_ci_u32_e32 v11, vcc_lo, 0, v12, vcc_lo
	v_add_co_u32 v9, vcc_lo, v10, v9
	v_add_co_ci_u32_e32 v9, vcc_lo, v11, v13, vcc_lo
	v_add_co_ci_u32_e32 v10, vcc_lo, 0, v14, vcc_lo
	v_add_co_u32 v8, vcc_lo, v9, v8
	v_add_co_ci_u32_e32 v9, vcc_lo, 0, v10, vcc_lo
	v_add_co_u32 v2, vcc_lo, v2, v8
	v_add_co_ci_u32_e32 v3, vcc_lo, v3, v9, vcc_lo
	v_mul_hi_u32 v8, s0, v2
	v_mul_lo_u32 v10, s30, v2
	v_mul_lo_u32 v9, s0, v3
	v_add_nc_u32_e32 v8, v8, v9
	v_mul_lo_u32 v9, s0, v2
	v_add_nc_u32_e32 v8, v8, v10
	v_mul_hi_u32 v10, v2, v9
	v_mul_lo_u32 v11, v2, v8
	v_mul_hi_u32 v12, v2, v8
	v_mul_hi_u32 v13, v3, v9
	v_mul_lo_u32 v9, v3, v9
	v_mul_hi_u32 v14, v3, v8
	v_mul_lo_u32 v8, v3, v8
	v_add_co_u32 v10, vcc_lo, v10, v11
	v_add_co_ci_u32_e32 v11, vcc_lo, 0, v12, vcc_lo
	v_add_co_u32 v9, vcc_lo, v10, v9
	v_add_co_ci_u32_e32 v9, vcc_lo, v11, v13, vcc_lo
	v_add_co_ci_u32_e32 v10, vcc_lo, 0, v14, vcc_lo
	v_add_co_u32 v8, vcc_lo, v9, v8
	v_add_co_ci_u32_e32 v9, vcc_lo, 0, v10, vcc_lo
	v_add_co_u32 v8, vcc_lo, v2, v8
	v_add_co_ci_u32_e32 v10, vcc_lo, v3, v9, vcc_lo
	v_mul_hi_u32 v12, v6, v8
	v_mad_u64_u32 v[8:9], null, v7, v8, 0
	v_mad_u64_u32 v[2:3], null, v6, v10, 0
	v_mad_u64_u32 v[10:11], null, v7, v10, 0
	v_add_co_u32 v2, vcc_lo, v12, v2
	v_add_co_ci_u32_e32 v3, vcc_lo, 0, v3, vcc_lo
	v_add_co_u32 v2, vcc_lo, v2, v8
	v_add_co_ci_u32_e32 v2, vcc_lo, v3, v9, vcc_lo
	v_add_co_ci_u32_e32 v3, vcc_lo, 0, v11, vcc_lo
	v_add_co_u32 v8, vcc_lo, v2, v10
	v_add_co_ci_u32_e32 v9, vcc_lo, 0, v3, vcc_lo
	v_mul_lo_u32 v10, s29, v8
	v_mad_u64_u32 v[2:3], null, s28, v8, 0
	v_mul_lo_u32 v11, s28, v9
	v_sub_co_u32 v2, vcc_lo, v6, v2
	v_add3_u32 v3, v3, v11, v10
	v_sub_nc_u32_e32 v10, v7, v3
	v_subrev_co_ci_u32_e64 v10, s0, s29, v10, vcc_lo
	v_add_co_u32 v11, s0, v8, 2
	v_add_co_ci_u32_e64 v12, s0, 0, v9, s0
	v_sub_co_u32 v13, s0, v2, s28
	v_sub_co_ci_u32_e32 v3, vcc_lo, v7, v3, vcc_lo
	v_subrev_co_ci_u32_e64 v10, s0, 0, v10, s0
	v_cmp_le_u32_e32 vcc_lo, s28, v13
	v_cmp_eq_u32_e64 s0, s29, v3
	v_cndmask_b32_e64 v13, 0, -1, vcc_lo
	v_cmp_le_u32_e32 vcc_lo, s29, v10
	v_cndmask_b32_e64 v14, 0, -1, vcc_lo
	v_cmp_le_u32_e32 vcc_lo, s28, v2
	;; [unrolled: 2-line block ×3, first 2 shown]
	v_cndmask_b32_e64 v15, 0, -1, vcc_lo
	v_cmp_eq_u32_e32 vcc_lo, s29, v10
	v_cndmask_b32_e64 v2, v15, v2, s0
	v_cndmask_b32_e32 v10, v14, v13, vcc_lo
	v_add_co_u32 v13, vcc_lo, v8, 1
	v_add_co_ci_u32_e32 v14, vcc_lo, 0, v9, vcc_lo
	v_cmp_ne_u32_e32 vcc_lo, 0, v10
	v_cndmask_b32_e32 v3, v14, v12, vcc_lo
	v_cndmask_b32_e32 v10, v13, v11, vcc_lo
	v_cmp_ne_u32_e32 vcc_lo, 0, v2
	v_cndmask_b32_e32 v119, v9, v3, vcc_lo
	v_cndmask_b32_e32 v118, v8, v10, vcc_lo
.LBB0_4:                                ;   in Loop: Header=BB0_2 Depth=1
	s_andn2_saveexec_b32 s0, s1
	s_cbranch_execz .LBB0_6
; %bb.5:                                ;   in Loop: Header=BB0_2 Depth=1
	v_cvt_f32_u32_e32 v2, s28
	s_sub_i32 s1, 0, s28
	v_mov_b32_e32 v119, v1
	v_rcp_iflag_f32_e32 v2, v2
	v_mul_f32_e32 v2, 0x4f7ffffe, v2
	v_cvt_u32_f32_e32 v2, v2
	v_mul_lo_u32 v3, s1, v2
	v_mul_hi_u32 v3, v2, v3
	v_add_nc_u32_e32 v2, v2, v3
	v_mul_hi_u32 v2, v6, v2
	v_mul_lo_u32 v3, v2, s28
	v_add_nc_u32_e32 v8, 1, v2
	v_sub_nc_u32_e32 v3, v6, v3
	v_subrev_nc_u32_e32 v9, s28, v3
	v_cmp_le_u32_e32 vcc_lo, s28, v3
	v_cndmask_b32_e32 v3, v3, v9, vcc_lo
	v_cndmask_b32_e32 v2, v2, v8, vcc_lo
	v_cmp_le_u32_e32 vcc_lo, s28, v3
	v_add_nc_u32_e32 v8, 1, v2
	v_cndmask_b32_e32 v118, v2, v8, vcc_lo
.LBB0_6:                                ;   in Loop: Header=BB0_2 Depth=1
	s_or_b32 exec_lo, exec_lo, s0
	v_mul_lo_u32 v8, v119, s28
	v_mul_lo_u32 v9, v118, s29
	s_load_dwordx2 s[0:1], s[22:23], 0x0
	v_mad_u64_u32 v[2:3], null, v118, s28, 0
	s_load_dwordx2 s[28:29], s[6:7], 0x0
	s_add_u32 s26, s26, 1
	s_addc_u32 s27, s27, 0
	s_add_u32 s6, s6, 8
	s_addc_u32 s7, s7, 0
	s_add_u32 s22, s22, 8
	v_add3_u32 v3, v3, v9, v8
	v_sub_co_u32 v2, vcc_lo, v6, v2
	s_addc_u32 s23, s23, 0
	s_add_u32 s24, s24, 8
	v_sub_co_ci_u32_e32 v3, vcc_lo, v7, v3, vcc_lo
	s_addc_u32 s25, s25, 0
	s_waitcnt lgkmcnt(0)
	v_mul_lo_u32 v6, s0, v3
	v_mul_lo_u32 v7, s1, v2
	v_mad_u64_u32 v[4:5], null, s0, v2, v[4:5]
	v_mul_lo_u32 v3, s28, v3
	v_mul_lo_u32 v8, s29, v2
	v_mad_u64_u32 v[116:117], null, s28, v2, v[116:117]
	v_cmp_ge_u64_e64 s0, s[26:27], s[14:15]
	v_add3_u32 v5, v7, v5, v6
	v_add3_u32 v117, v8, v117, v3
	s_and_b32 vcc_lo, exec_lo, s0
	s_cbranch_vccnz .LBB0_9
; %bb.7:                                ;   in Loop: Header=BB0_2 Depth=1
	v_mov_b32_e32 v6, v118
	v_mov_b32_e32 v7, v119
	s_branch .LBB0_2
.LBB0_8:
	v_mov_b32_e32 v117, v5
	v_mov_b32_e32 v119, v7
	;; [unrolled: 1-line block ×4, first 2 shown]
.LBB0_9:
	s_load_dwordx2 s[0:1], s[4:5], 0x28
	v_mul_hi_u32 v1, 0x1c71c72, v0
	s_lshl_b64 s[6:7], s[14:15], 3
                                        ; implicit-def: $vgpr132
                                        ; implicit-def: $vgpr133
                                        ; implicit-def: $vgpr134
                                        ; implicit-def: $vgpr135
                                        ; implicit-def: $vgpr136
                                        ; implicit-def: $vgpr137
	s_add_u32 s4, s18, s6
	s_addc_u32 s5, s19, s7
	s_waitcnt lgkmcnt(0)
	v_cmp_gt_u64_e32 vcc_lo, s[0:1], v[118:119]
	v_cmp_le_u64_e64 s0, s[0:1], v[118:119]
	s_and_saveexec_b32 s1, s0
	s_xor_b32 s0, exec_lo, s1
; %bb.10:
	v_mul_u32_u24_e32 v1, 0x90, v1
                                        ; implicit-def: $vgpr4_vgpr5
	v_sub_nc_u32_e32 v132, v0, v1
                                        ; implicit-def: $vgpr1
                                        ; implicit-def: $vgpr0
	v_add_nc_u32_e32 v133, 0x90, v132
	v_add_nc_u32_e32 v134, 0x120, v132
	;; [unrolled: 1-line block ×5, first 2 shown]
; %bb.11:
	s_or_saveexec_b32 s1, s0
                                        ; implicit-def: $vgpr76_vgpr77
                                        ; implicit-def: $vgpr96_vgpr97
                                        ; implicit-def: $vgpr52_vgpr53
                                        ; implicit-def: $vgpr2_vgpr3
                                        ; implicit-def: $vgpr84_vgpr85
                                        ; implicit-def: $vgpr8_vgpr9
                                        ; implicit-def: $vgpr56_vgpr57
                                        ; implicit-def: $vgpr36_vgpr37
                                        ; implicit-def: $vgpr12_vgpr13
                                        ; implicit-def: $vgpr32_vgpr33
                                        ; implicit-def: $vgpr80_vgpr81
                                        ; implicit-def: $vgpr16_vgpr17
                                        ; implicit-def: $vgpr20_vgpr21
                                        ; implicit-def: $vgpr40_vgpr41
                                        ; implicit-def: $vgpr64_vgpr65
                                        ; implicit-def: $vgpr24_vgpr25
                                        ; implicit-def: $vgpr88_vgpr89
                                        ; implicit-def: $vgpr44_vgpr45
                                        ; implicit-def: $vgpr28_vgpr29
                                        ; implicit-def: $vgpr48_vgpr49
                                        ; implicit-def: $vgpr72_vgpr73
                                        ; implicit-def: $vgpr68_vgpr69
                                        ; implicit-def: $vgpr92_vgpr93
                                        ; implicit-def: $vgpr60_vgpr61
	s_xor_b32 exec_lo, exec_lo, s1
	s_cbranch_execz .LBB0_13
; %bb.12:
	s_add_u32 s6, s16, s6
	s_addc_u32 s7, s17, s7
	v_mul_u32_u24_e32 v1, 0x90, v1
	s_load_dwordx2 s[6:7], s[6:7], 0x0
	v_lshlrev_b64 v[2:3], 4, v[4:5]
	v_sub_nc_u32_e32 v132, v0, v1
	v_add_nc_u32_e32 v136, 0x240, v132
	v_mad_u64_u32 v[0:1], null, s20, v132, 0
	v_add_nc_u32_e32 v16, 0x480, v132
	v_add_nc_u32_e32 v17, 0x6c0, v132
	v_mad_u64_u32 v[4:5], null, s20, v136, 0
	v_or_b32_e32 v18, 0x900, v132
	v_mad_u64_u32 v[6:7], null, s20, v16, 0
	v_mad_u64_u32 v[10:11], null, s21, v132, v[1:2]
	s_waitcnt lgkmcnt(0)
	v_mul_lo_u32 v13, s7, v118
	v_mul_lo_u32 v14, s6, v119
	v_mad_u64_u32 v[8:9], null, s6, v118, 0
	v_mov_b32_e32 v1, v5
	v_mad_u64_u32 v[11:12], null, s20, v17, 0
	v_mov_b32_e32 v5, v7
	v_add_nc_u32_e32 v133, 0x90, v132
	v_add_nc_u32_e32 v137, 0x2d0, v132
	v_add3_u32 v9, v9, v14, v13
	v_mad_u64_u32 v[13:14], null, s21, v136, v[1:2]
	v_mov_b32_e32 v1, v10
	v_mad_u64_u32 v[14:15], null, s20, v18, 0
	v_lshlrev_b64 v[7:8], 4, v[8:9]
	v_mad_u64_u32 v[9:10], null, s21, v16, v[5:6]
	v_mov_b32_e32 v10, v12
	v_mov_b32_e32 v5, v13
	v_lshlrev_b64 v[0:1], 4, v[0:1]
	v_add_co_u32 v12, s0, s8, v7
	v_add_co_ci_u32_e64 v13, s0, s9, v8, s0
	v_mov_b32_e32 v7, v9
	v_add_co_u32 v8, s0, v12, v2
	v_add_co_ci_u32_e64 v9, s0, v13, v3, s0
	v_lshlrev_b64 v[2:3], 4, v[4:5]
	v_mad_u64_u32 v[4:5], null, s21, v17, v[10:11]
	v_add_nc_u32_e32 v13, 0xb40, v132
	v_add_co_u32 v0, s0, v8, v0
	v_lshlrev_b64 v[5:6], 4, v[6:7]
	v_add_co_ci_u32_e64 v1, s0, v9, v1, s0
	v_add_co_u32 v2, s0, v8, v2
	v_mov_b32_e32 v7, v15
	v_mov_b32_e32 v12, v4
	v_mad_u64_u32 v[16:17], null, s20, v13, 0
	v_add_co_ci_u32_e64 v3, s0, v9, v3, s0
	v_add_co_u32 v4, s0, v8, v5
	v_mad_u64_u32 v[18:19], null, s21, v18, v[7:8]
	v_add_co_ci_u32_e64 v5, s0, v9, v6, s0
	v_lshlrev_b64 v[6:7], 4, v[11:12]
	v_mad_u64_u32 v[11:12], null, s20, v133, 0
	v_mov_b32_e32 v10, v17
	v_mov_b32_e32 v15, v18
	v_add_nc_u32_e32 v24, 0x510, v132
	v_add_co_u32 v6, s0, v8, v6
	v_add_co_ci_u32_e64 v7, s0, v9, v7, s0
	v_mad_u64_u32 v[17:18], null, s21, v13, v[10:11]
	v_mov_b32_e32 v10, v12
	v_mad_u64_u32 v[18:19], null, s20, v137, 0
	v_lshlrev_b64 v[13:14], 4, v[14:15]
	v_add_nc_u32_e32 v26, 0x750, v132
	v_mad_u64_u32 v[20:21], null, s21, v133, v[10:11]
	v_add_nc_u32_e32 v28, 0x990, v132
	v_add_nc_u32_e32 v30, 0xbd0, v132
	v_mov_b32_e32 v10, v19
	v_add_co_u32 v13, s0, v8, v13
	v_add_nc_u32_e32 v134, 0x120, v132
	v_mov_b32_e32 v12, v20
	v_mad_u64_u32 v[20:21], null, s20, v24, 0
	v_mad_u64_u32 v[22:23], null, s21, v137, v[10:11]
	v_lshlrev_b64 v[10:11], 4, v[11:12]
	v_add_nc_u32_e32 v34, 0x360, v132
	v_lshlrev_b64 v[15:16], 4, v[16:17]
	v_add_co_ci_u32_e64 v14, s0, v9, v14, s0
	v_mov_b32_e32 v12, v21
	v_mov_b32_e32 v19, v22
	v_mad_u64_u32 v[22:23], null, s20, v26, 0
	v_add_co_u32 v15, s0, v8, v15
	v_mad_u64_u32 v[24:25], null, s21, v24, v[12:13]
	v_lshlrev_b64 v[17:18], 4, v[18:19]
	v_add_nc_u32_e32 v37, 0x5a0, v132
	v_mov_b32_e32 v12, v23
	v_add_co_ci_u32_e64 v16, s0, v9, v16, s0
	v_add_co_u32 v10, s0, v8, v10
	v_mov_b32_e32 v21, v24
	v_mad_u64_u32 v[24:25], null, s20, v28, 0
	v_mad_u64_u32 v[26:27], null, s21, v26, v[12:13]
	v_lshlrev_b64 v[19:20], 4, v[20:21]
	v_add_co_ci_u32_e64 v11, s0, v9, v11, s0
	v_add_nc_u32_e32 v40, 0x7e0, v132
	v_mov_b32_e32 v12, v25
	v_add_co_u32 v17, s0, v8, v17
	v_mov_b32_e32 v23, v26
	v_mad_u64_u32 v[26:27], null, s20, v30, 0
	v_mad_u64_u32 v[28:29], null, s21, v28, v[12:13]
	v_lshlrev_b64 v[21:22], 4, v[22:23]
	v_add_co_ci_u32_e64 v18, s0, v9, v18, s0
	v_add_co_u32 v19, s0, v8, v19
	v_mov_b32_e32 v12, v27
	v_mov_b32_e32 v25, v28
	v_mad_u64_u32 v[28:29], null, s20, v134, 0
	v_add_co_ci_u32_e64 v20, s0, v9, v20, s0
	v_mad_u64_u32 v[30:31], null, s21, v30, v[12:13]
	v_lshlrev_b64 v[23:24], 4, v[24:25]
	v_add_co_u32 v21, s0, v8, v21
	v_mov_b32_e32 v12, v29
	v_add_co_ci_u32_e64 v22, s0, v9, v22, s0
	v_mov_b32_e32 v27, v30
	v_mad_u64_u32 v[30:31], null, s20, v34, 0
	v_mad_u64_u32 v[32:33], null, s21, v134, v[12:13]
	v_lshlrev_b64 v[25:26], 4, v[26:27]
	v_add_co_u32 v23, s0, v8, v23
	v_add_co_ci_u32_e64 v24, s0, v9, v24, s0
	v_mov_b32_e32 v12, v31
	v_mov_b32_e32 v29, v32
	v_mad_u64_u32 v[32:33], null, s20, v37, 0
	v_add_co_u32 v25, s0, v8, v25
	v_mad_u64_u32 v[34:35], null, s21, v34, v[12:13]
	v_mad_u64_u32 v[35:36], null, s20, v40, 0
	v_mov_b32_e32 v12, v33
	v_lshlrev_b64 v[27:28], 4, v[28:29]
	v_add_co_ci_u32_e64 v26, s0, v9, v26, s0
	v_mov_b32_e32 v31, v34
	v_mad_u64_u32 v[37:38], null, s21, v37, v[12:13]
	v_mov_b32_e32 v12, v36
	v_add_nc_u32_e32 v34, 0xa20, v132
	v_add_co_u32 v38, s0, v8, v27
	v_add_co_ci_u32_e64 v39, s0, v9, v28, s0
	v_lshlrev_b64 v[27:28], 4, v[30:31]
	v_mad_u64_u32 v[29:30], null, s21, v40, v[12:13]
	v_mad_u64_u32 v[30:31], null, s20, v34, 0
	v_mov_b32_e32 v33, v37
	v_add_nc_u32_e32 v37, 0xc60, v132
	v_add_co_u32 v54, s0, v8, v27
	v_add_nc_u32_e32 v135, 0x1b0, v132
	v_add_co_ci_u32_e64 v55, s0, v9, v28, s0
	v_mov_b32_e32 v12, v31
	v_mad_u64_u32 v[40:41], null, s20, v37, 0
	v_lshlrev_b64 v[27:28], 4, v[32:33]
	v_mov_b32_e32 v36, v29
	v_mad_u64_u32 v[31:32], null, s21, v34, v[12:13]
	v_mad_u64_u32 v[32:33], null, s20, v135, 0
	v_mov_b32_e32 v29, v41
	v_add_co_u32 v62, s0, v8, v27
	v_add_co_ci_u32_e64 v63, s0, v9, v28, s0
	v_lshlrev_b64 v[27:28], 4, v[35:36]
	v_mad_u64_u32 v[41:42], null, s21, v37, v[29:30]
	v_mov_b32_e32 v12, v33
	v_add_nc_u32_e32 v42, 0x3f0, v132
	v_add_nc_u32_e32 v43, 0x630, v132
	v_add_co_u32 v64, s0, v8, v27
	v_mad_u64_u32 v[33:34], null, s21, v135, v[12:13]
	v_add_co_ci_u32_e64 v65, s0, v9, v28, s0
	v_lshlrev_b64 v[27:28], 4, v[30:31]
	v_mad_u64_u32 v[34:35], null, s20, v42, 0
	v_mad_u64_u32 v[36:37], null, s20, v43, 0
	v_add_nc_u32_e32 v44, 0x870, v132
	v_add_co_u32 v78, s0, v8, v27
	v_add_co_ci_u32_e64 v79, s0, v9, v28, s0
	v_mad_u64_u32 v[27:28], null, s20, v44, 0
	v_mov_b32_e32 v12, v35
	v_mov_b32_e32 v31, v37
	v_add_nc_u32_e32 v45, 0xab0, v132
	v_lshlrev_b64 v[29:30], 4, v[40:41]
	v_add_nc_u32_e32 v46, 0xcf0, v132
	v_mad_u64_u32 v[40:41], null, s21, v42, v[12:13]
	v_mad_u64_u32 v[41:42], null, s21, v43, v[31:32]
	v_mov_b32_e32 v12, v28
	v_mad_u64_u32 v[42:43], null, s20, v45, 0
	v_add_co_u32 v80, s0, v8, v29
	v_mad_u64_u32 v[28:29], null, s21, v44, v[12:13]
	v_add_co_ci_u32_e64 v81, s0, v9, v30, s0
	v_mov_b32_e32 v35, v40
	v_mad_u64_u32 v[29:30], null, s20, v46, 0
	v_lshlrev_b64 v[31:32], 4, v[32:33]
	v_mov_b32_e32 v12, v43
	v_lshlrev_b64 v[33:34], 4, v[34:35]
	v_mov_b32_e32 v37, v41
	v_lshlrev_b64 v[27:28], 4, v[27:28]
	v_add_co_u32 v31, s0, v8, v31
	v_mad_u64_u32 v[40:41], null, s21, v45, v[12:13]
	v_mov_b32_e32 v12, v30
	v_add_co_ci_u32_e64 v32, s0, v9, v32, s0
	v_add_co_u32 v98, s0, v8, v33
	v_add_co_ci_u32_e64 v99, s0, v9, v34, s0
	v_mad_u64_u32 v[33:34], null, s21, v46, v[12:13]
	v_lshlrev_b64 v[35:36], 4, v[36:37]
	v_mov_b32_e32 v43, v40
	v_add_co_u32 v40, s0, v8, v35
	v_mov_b32_e32 v30, v33
	v_add_co_ci_u32_e64 v41, s0, v9, v36, s0
	v_lshlrev_b64 v[34:35], 4, v[42:43]
	v_add_co_u32 v100, s0, v8, v27
	v_add_co_ci_u32_e64 v101, s0, v9, v28, s0
	v_lshlrev_b64 v[27:28], 4, v[29:30]
	v_add_co_u32 v102, s0, v8, v34
	v_add_co_ci_u32_e64 v103, s0, v9, v35, s0
	v_add_co_u32 v104, s0, v8, v27
	v_add_co_ci_u32_e64 v105, s0, v9, v28, s0
	s_clause 0x17
	global_load_dwordx4 v[58:61], v[0:1], off
	global_load_dwordx4 v[74:77], v[2:3], off
	;; [unrolled: 1-line block ×24, first 2 shown]
.LBB0_13:
	s_or_b32 exec_lo, exec_lo, s1
	s_waitcnt vmcnt(18)
	v_add_f64 v[4:5], v[52:53], v[92:93]
	s_waitcnt vmcnt(12)
	v_add_f64 v[112:113], v[84:85], v[28:29]
	v_add_f64 v[104:105], v[50:51], v[90:91]
	;; [unrolled: 1-line block ×4, first 2 shown]
	v_add_f64 v[114:115], v[90:91], -v[50:51]
	s_waitcnt vmcnt(6)
	v_add_f64 v[120:121], v[12:13], v[88:89]
	v_add_f64 v[122:123], v[82:83], v[26:27]
	;; [unrolled: 1-line block ×3, first 2 shown]
	s_waitcnt vmcnt(0)
	v_add_f64 v[126:127], v[80:81], v[20:21]
	v_add_f64 v[92:93], v[92:93], -v[52:53]
	s_mov_b32 s8, 0xe8584caa
	s_mov_b32 s9, 0xbfebb67a
	v_add_f64 v[100:101], v[96:97], v[60:61]
	v_add_f64 v[124:125], v[82:83], v[70:71]
	v_add_f64 v[84:85], v[84:85], -v[28:29]
	v_add_f64 v[147:148], v[56:57], v[88:89]
	v_add_f64 v[142:143], v[78:79], v[18:19]
	;; [unrolled: 1-line block ×3, first 2 shown]
	v_add_f64 v[78:79], v[78:79], -v[18:19]
	v_add_f64 v[130:131], v[10:11], v[86:87]
	v_add_f64 v[138:139], v[54:55], v[86:87]
	v_fma_f64 v[4:5], v[4:5], -0.5, v[76:77]
	v_add_f64 v[76:77], v[82:83], -v[26:27]
	v_fma_f64 v[72:73], v[112:113], -0.5, v[72:73]
	v_fma_f64 v[74:75], v[104:105], -0.5, v[74:75]
	v_add_f64 v[82:83], v[6:7], v[46:47]
	v_add_f64 v[86:87], v[86:87], -v[10:11]
	v_fma_f64 v[56:57], v[120:121], -0.5, v[56:57]
	v_add_f64 v[120:121], v[80:81], v[64:65]
	v_fma_f64 v[70:71], v[122:123], -0.5, v[70:71]
	v_fma_f64 v[64:65], v[126:127], -0.5, v[64:65]
	v_add_f64 v[102:103], v[94:95], v[66:67]
	v_add_f64 v[106:107], v[96:97], v[68:69]
	s_mov_b32 s7, 0x3febb67a
	s_mov_b32 s6, s8
	v_add_f64 v[151:152], v[14:15], v[38:39]
	v_add_f64 v[98:99], v[94:95], v[58:59]
	v_add_f64 v[96:97], v[96:97], -v[68:69]
	v_add_f64 v[128:129], v[48:49], -v[8:9]
	v_add_f64 v[104:105], v[0:1], v[46:47]
	v_add_f64 v[80:81], v[80:81], -v[20:21]
	v_add_f64 v[100:101], v[68:69], v[100:101]
	v_add_f64 v[68:69], v[50:51], v[108:109]
	v_fma_f64 v[126:127], v[114:115], s[6:7], v[4:5]
	v_fma_f64 v[4:5], v[114:115], s[8:9], v[4:5]
	;; [unrolled: 1-line block ×5, first 2 shown]
	v_fma_f64 v[0:1], v[82:83], -0.5, v[0:1]
	v_fma_f64 v[50:51], v[142:143], -0.5, v[62:63]
	v_add_f64 v[88:89], v[88:89], -v[12:13]
	v_fma_f64 v[167:168], v[84:85], s[6:7], v[70:71]
	v_fma_f64 v[165:166], v[78:79], s[8:9], v[64:65]
	v_add_f64 v[112:113], v[34:35], v[22:23]
	v_fma_f64 v[54:55], v[130:131], -0.5, v[54:55]
	v_fma_f64 v[159:160], v[86:87], s[6:7], v[56:57]
	v_fma_f64 v[58:59], v[102:103], -0.5, v[58:59]
	v_fma_f64 v[161:162], v[86:87], s[8:9], v[56:57]
	v_add_f64 v[94:95], v[94:95], -v[66:67]
	v_fma_f64 v[60:61], v[106:107], -0.5, v[60:61]
	v_fma_f64 v[163:164], v[78:79], s[6:7], v[64:65]
	v_add_f64 v[122:123], v[30:31], v[38:39]
	v_add_f64 v[102:103], v[52:53], v[110:111]
	v_fma_f64 v[56:57], v[92:93], s[6:7], v[74:75]
	v_fma_f64 v[30:31], v[151:152], -0.5, v[30:31]
	v_mul_f64 v[52:53], v[126:127], s[8:9]
	v_mul_f64 v[62:63], v[4:5], s[8:9]
	;; [unrolled: 1-line block ×4, first 2 shown]
	v_fma_f64 v[151:152], v[84:85], s[8:9], v[70:71]
	v_mul_f64 v[70:71], v[155:156], s[8:9]
	v_add_f64 v[66:67], v[66:67], v[98:99]
	v_mul_f64 v[4:5], v[4:5], -0.5
	v_fma_f64 v[173:174], v[80:81], s[8:9], v[50:51]
	v_fma_f64 v[175:176], v[80:81], s[6:7], v[50:51]
	v_mul_f64 v[50:51], v[165:166], s[8:9]
	v_fma_f64 v[80:81], v[128:129], s[8:9], v[0:1]
	v_fma_f64 v[0:1], v[128:129], s[6:7], v[0:1]
	v_add_f64 v[149:150], v[34:35], v[42:43]
	v_add_f64 v[140:141], v[36:37], -v[24:25]
	v_fma_f64 v[42:43], v[112:113], -0.5, v[42:43]
	v_fma_f64 v[169:170], v[88:89], s[8:9], v[54:55]
	v_fma_f64 v[171:172], v[88:89], s[6:7], v[54:55]
	v_mul_f64 v[54:55], v[159:160], s[8:9]
	v_fma_f64 v[74:75], v[96:97], s[8:9], v[58:59]
	v_fma_f64 v[76:77], v[96:97], s[6:7], v[58:59]
	v_mul_f64 v[58:59], v[161:162], s[8:9]
	v_add_f64 v[153:154], v[40:41], -v[16:17]
	v_fma_f64 v[106:107], v[94:95], s[6:7], v[60:61]
	v_fma_f64 v[72:73], v[167:168], -0.5, v[72:73]
	v_fma_f64 v[108:109], v[94:95], s[8:9], v[60:61]
	v_mul_f64 v[60:61], v[163:164], s[8:9]
	v_fma_f64 v[78:79], v[114:115], 0.5, v[52:53]
	v_fma_f64 v[62:63], v[56:57], -0.5, v[62:63]
	v_fma_f64 v[130:131], v[126:127], 0.5, v[64:65]
	v_add_f64 v[64:65], v[6:7], v[104:105]
	v_add_f64 v[26:27], v[26:27], v[124:125]
	v_fma_f64 v[70:71], v[151:152], 0.5, v[70:71]
	v_fma_f64 v[4:5], v[56:57], s[6:7], v[4:5]
	v_fma_f64 v[104:105], v[175:176], -0.5, v[50:51]
	v_add_f64 v[50:51], v[68:69], v[66:67]
	v_add_f64 v[56:57], v[66:67], -v[68:69]
	v_add_f64 v[84:85], v[22:23], v[149:150]
	v_add_f64 v[10:11], v[10:11], v[138:139]
	v_fma_f64 v[82:83], v[140:141], s[8:9], v[42:43]
	v_fma_f64 v[86:87], v[169:170], 0.5, v[54:55]
	v_fma_f64 v[42:43], v[140:141], s[6:7], v[42:43]
	v_add_f64 v[92:93], v[14:15], v[122:123]
	v_fma_f64 v[88:89], v[171:172], -0.5, v[58:59]
	v_fma_f64 v[96:97], v[153:154], s[8:9], v[30:31]
	v_add_f64 v[18:19], v[18:19], v[144:145]
	v_add_f64 v[66:67], v[0:1], v[72:73]
	v_add_f64 v[72:73], v[0:1], -v[72:73]
	v_mul_u32_u24_e32 v0, 6, v132
	v_fma_f64 v[98:99], v[173:174], 0.5, v[60:61]
	v_mul_i32_i24_e32 v1, 6, v134
	v_fma_f64 v[30:31], v[153:154], s[6:7], v[30:31]
	v_add_f64 v[52:53], v[74:75], v[78:79]
	v_lshl_add_u32 v115, v0, 3, 0
	v_mul_i32_i24_e32 v0, 6, v133
	v_add_f64 v[54:55], v[76:77], v[62:63]
	v_add_f64 v[58:59], v[74:75], -v[78:79]
	v_add_f64 v[60:61], v[76:77], -v[62:63]
	v_add_f64 v[62:63], v[64:65], v[26:27]
	v_lshl_add_u32 v138, v0, 3, 0
	v_mul_i32_i24_e32 v0, 6, v135
	v_add_f64 v[68:69], v[64:65], -v[26:27]
	v_add_f64 v[64:65], v[80:81], v[70:71]
	v_lshl_add_u32 v139, v1, 3, 0
	v_add_f64 v[70:71], v[80:81], -v[70:71]
	v_lshl_add_u32 v140, v0, 3, 0
	v_add_f64 v[0:1], v[8:9], v[48:49]
	v_add_f64 v[74:75], v[10:11], v[84:85]
	v_add_f64 v[80:81], v[84:85], -v[10:11]
	v_add_f64 v[10:11], v[16:17], v[40:41]
	v_add_f64 v[76:77], v[82:83], v[86:87]
	;; [unrolled: 1-line block ×3, first 2 shown]
	v_add_f64 v[82:83], v[82:83], -v[86:87]
	v_add_f64 v[84:85], v[42:43], -v[88:89]
	v_add_f64 v[86:87], v[92:93], v[18:19]
	v_add_f64 v[88:89], v[96:97], v[98:99]
	;; [unrolled: 1-line block ×3, first 2 shown]
	v_add_f64 v[145:146], v[108:109], -v[4:5]
	v_add_f64 v[4:5], v[36:37], v[24:25]
	v_add_f64 v[94:95], v[92:93], -v[18:19]
	v_add_f64 v[92:93], v[30:31], v[104:105]
	v_add_f64 v[96:97], v[96:97], -v[98:99]
	v_add_f64 v[98:99], v[30:31], -v[104:105]
	ds_write_b128 v115, v[50:53]
	ds_write_b128 v115, v[54:57] offset:16
	ds_write_b128 v115, v[58:61] offset:32
	ds_write_b128 v138, v[62:65]
	ds_write_b128 v138, v[66:69] offset:16
	v_add_f64 v[18:19], v[2:3], v[48:49]
	v_fma_f64 v[26:27], v[0:1], -0.5, v[2:3]
	v_add_f64 v[30:31], v[46:47], -v[6:7]
	v_mul_f64 v[62:63], v[151:152], s[6:7]
	v_add_f64 v[66:67], v[36:37], v[44:45]
	ds_write_b128 v138, v[70:73] offset:32
	ds_write_b128 v139, v[74:77]
	ds_write_b128 v139, v[78:81] offset:16
	ds_write_b128 v139, v[82:85] offset:32
	ds_write_b128 v140, v[86:89]
	v_mul_f64 v[64:65], v[157:158], -0.5
	v_add_f64 v[74:75], v[32:33], v[40:41]
	v_fma_f64 v[32:33], v[10:11], -0.5, v[32:33]
	v_add_f64 v[14:15], v[38:39], -v[14:15]
	v_mul_f64 v[78:79], v[165:166], -0.5
	v_add_f64 v[22:23], v[34:35], -v[22:23]
	v_fma_f64 v[68:69], v[4:5], -0.5, v[44:45]
	v_mul_f64 v[70:71], v[169:170], s[6:7]
	v_mul_f64 v[72:73], v[161:162], -0.5
	v_mul_f64 v[76:77], v[173:174], s[6:7]
	v_add_f64 v[80:81], v[28:29], v[90:91]
	v_add_f64 v[86:87], v[12:13], v[147:148]
	s_load_dwordx2 s[4:5], s[4:5], 0x0
	ds_write_b128 v140, v[92:95] offset:16
	ds_write_b128 v140, v[96:99] offset:32
	v_add_f64 v[111:112], v[102:103], v[100:101]
	v_add_f64 v[18:19], v[8:9], v[18:19]
	;; [unrolled: 1-line block ×3, first 2 shown]
	v_fma_f64 v[82:83], v[30:31], s[6:7], v[26:27]
	v_fma_f64 v[62:63], v[155:156], 0.5, v[62:63]
	v_add_f64 v[66:67], v[24:25], v[66:67]
	v_fma_f64 v[84:85], v[30:31], s[8:9], v[26:27]
	v_add_f64 v[94:95], v[20:21], v[120:121]
	v_fma_f64 v[64:65], v[167:168], s[6:7], v[64:65]
	v_add_f64 v[92:93], v[16:17], v[74:75]
	v_add_f64 v[125:126], v[100:101], -v[102:103]
	v_fma_f64 v[96:97], v[14:15], s[6:7], v[32:33]
	v_fma_f64 v[32:33], v[14:15], s[8:9], v[32:33]
	;; [unrolled: 1-line block ×4, first 2 shown]
	v_fma_f64 v[70:71], v[159:160], 0.5, v[70:71]
	v_fma_f64 v[90:91], v[22:23], s[8:9], v[68:69]
	v_fma_f64 v[72:73], v[171:172], s[6:7], v[72:73]
	v_fma_f64 v[98:99], v[163:164], 0.5, v[76:77]
	v_add_f64 v[143:144], v[106:107], -v[130:131]
	v_mad_i32_i24 v141, 0xffffffd8, v132, v115
	v_mad_i32_i24 v130, 0xffffffd8, v133, v138
	v_lshl_add_u32 v142, v136, 3, 0
	v_add_f64 v[12:13], v[18:19], v[80:81]
	v_mad_i32_i24 v128, 0xffffffd8, v134, v139
	v_add_nc_u32_e32 v107, 0x1e00, v141
	v_add_f64 v[14:15], v[82:83], v[62:63]
	v_add_f64 v[20:21], v[82:83], -v[62:63]
	v_add_f64 v[62:63], v[86:87], v[66:67]
	v_add_f64 v[68:69], v[66:67], -v[86:87]
	v_mov_b32_e32 v86, 0xaaab
	v_add_nc_u32_e32 v106, 0x3000, v141
	v_add_nc_u32_e32 v110, 0x4200, v141
	;; [unrolled: 1-line block ×4, first 2 shown]
	v_mul_u32_u24_sdwa v87, v133, v86 dst_sel:DWORD dst_unused:UNUSED_PAD src0_sel:WORD_0 src1_sel:DWORD
	v_add_nc_u32_e32 v102, 0x4c00, v141
	v_add_f64 v[16:17], v[84:85], v[64:65]
	v_add_f64 v[22:23], v[84:85], -v[64:65]
	v_add_f64 v[78:79], v[32:33], v[104:105]
	v_add_f64 v[84:85], v[32:33], -v[104:105]
	v_mul_u32_u24_sdwa v32, v134, v86 dst_sel:DWORD dst_unused:UNUSED_PAD src0_sel:WORD_0 src1_sel:DWORD
	v_add_nc_u32_e32 v103, 0x1400, v141
	v_add_nc_u32_e32 v108, 0x5c00, v141
	;; [unrolled: 1-line block ×3, first 2 shown]
	v_mad_i32_i24 v129, 0xffffffd8, v135, v140
	v_lshrrev_b32_e32 v109, 18, v87
	s_waitcnt lgkmcnt(0)
	s_barrier
	buffer_gl0_inv
	ds_read_b64 v[56:57], v141
	ds_read_b64 v[52:53], v128
	;; [unrolled: 1-line block ×5, first 2 shown]
	ds_read_b64 v[58:59], v141 offset:26496
	ds_read2_b64 v[42:45], v107 offset0:48 offset1:192
	ds_read2_b64 v[34:37], v106 offset0:48 offset1:192
	;; [unrolled: 1-line block ×9, first 2 shown]
	s_waitcnt lgkmcnt(0)
	s_barrier
	buffer_gl0_inv
	ds_write_b128 v115, v[111:114]
	v_lshrrev_b32_e32 v111, 18, v32
	v_add_f64 v[18:19], v[18:19], -v[80:81]
	v_add_f64 v[64:65], v[88:89], v[70:71]
	v_add_f64 v[66:67], v[90:91], v[72:73]
	v_add_f64 v[70:71], v[88:89], -v[70:71]
	v_add_f64 v[72:73], v[90:91], -v[72:73]
	v_add_f64 v[74:75], v[92:93], v[94:95]
	v_add_f64 v[76:77], v[96:97], v[98:99]
	v_add_f64 v[82:83], v[96:97], -v[98:99]
	v_add_f64 v[80:81], v[92:93], -v[94:95]
	ds_write_b128 v115, v[123:126] offset:16
	ds_write_b128 v115, v[143:146] offset:32
	ds_write_b128 v138, v[12:15]
	v_mul_lo_u16 v12, v109, 6
	v_mul_lo_u16 v13, v111, 6
	v_mov_b32_e32 v104, 5
	ds_write_b128 v138, v[16:19] offset:16
	ds_write_b128 v138, v[20:23] offset:32
	v_sub_nc_u16 v112, v133, v12
	v_sub_nc_u16 v113, v134, v13
	ds_write_b128 v139, v[62:65]
	ds_write_b128 v139, v[66:69] offset:16
	ds_write_b128 v139, v[70:73] offset:32
	ds_write_b128 v140, v[74:77]
	ds_write_b128 v140, v[78:81] offset:16
	v_mul_u32_u24_sdwa v12, v112, v104 dst_sel:DWORD dst_unused:UNUSED_PAD src0_sel:WORD_0 src1_sel:DWORD
	v_mul_u32_u24_sdwa v13, v113, v104 dst_sel:DWORD dst_unused:UNUSED_PAD src0_sel:WORD_0 src1_sel:DWORD
	ds_write_b128 v140, v[82:85] offset:32
	s_waitcnt lgkmcnt(0)
	s_barrier
	v_lshlrev_b32_e32 v32, 4, v12
	v_lshlrev_b32_e32 v33, 4, v13
	buffer_gl0_inv
	s_clause 0x9
	global_load_dwordx4 v[12:15], v32, s[12:13]
	global_load_dwordx4 v[16:19], v33, s[12:13]
	global_load_dwordx4 v[20:23], v32, s[12:13] offset:16
	global_load_dwordx4 v[68:71], v33, s[12:13] offset:16
	;; [unrolled: 1-line block ×8, first 2 shown]
	v_and_b32_e32 v105, 0xff, v132
	ds_read2_b64 v[62:65], v103 offset0:80 offset1:224
	ds_read2_b64 v[82:85], v101 offset0:16 offset1:160
	;; [unrolled: 1-line block ×3, first 2 shown]
	v_mul_u32_u24_e32 v109, 0x120, v109
	v_mul_lo_u16 v32, 0xab, v105
	v_cmp_gt_u32_e64 s0, 0x48, v132
	v_lshrrev_b16 v121, 10, v32
	v_mul_lo_u16 v32, v121, 6
	v_sub_nc_u16 v114, v132, v32
	v_mul_u32_u24_sdwa v32, v135, v86 dst_sel:DWORD dst_unused:UNUSED_PAD src0_sel:WORD_0 src1_sel:DWORD
	v_mul_u32_u24_sdwa v33, v114, v104 dst_sel:DWORD dst_unused:UNUSED_PAD src0_sel:BYTE_0 src1_sel:DWORD
	v_lshrrev_b32_e32 v115, 18, v32
	v_lshlrev_b32_e32 v127, 4, v33
	v_mul_lo_u16 v32, v115, 6
	s_clause 0x1
	global_load_dwordx4 v[143:146], v127, s[12:13] offset:16
	global_load_dwordx4 v[147:150], v127, s[12:13] offset:64
	v_sub_nc_u16 v120, v135, v32
	v_mul_u32_u24_sdwa v32, v120, v104 dst_sel:DWORD dst_unused:UNUSED_PAD src0_sel:WORD_0 src1_sel:DWORD
	v_lshlrev_b32_e32 v131, 4, v32
	s_clause 0x3
	global_load_dwordx4 v[151:154], v131, s[12:13]
	global_load_dwordx4 v[159:162], v127, s[12:13] offset:32
	global_load_dwordx4 v[163:166], v131, s[12:13] offset:16
	;; [unrolled: 1-line block ×3, first 2 shown]
	ds_read2_b64 v[171:174], v102 offset0:16 offset1:160
	s_waitcnt vmcnt(15) lgkmcnt(3)
	v_mul_f64 v[32:33], v[62:63], v[14:15]
	v_mul_f64 v[14:15], v[46:47], v[14:15]
	s_waitcnt vmcnt(14)
	v_mul_f64 v[76:77], v[64:65], v[18:19]
	v_mul_f64 v[18:19], v[48:49], v[18:19]
	s_waitcnt vmcnt(12)
	v_mul_f64 v[86:87], v[40:41], v[70:71]
	v_fma_f64 v[66:67], v[46:47], v[12:13], v[32:33]
	v_fma_f64 v[62:63], v[62:63], v[12:13], -v[14:15]
	s_waitcnt lgkmcnt(2)
	v_mul_f64 v[12:13], v[82:83], v[22:23]
	v_mul_f64 v[14:15], v[38:39], v[22:23]
	v_fma_f64 v[48:49], v[48:49], v[16:17], v[76:77]
	v_mul_f64 v[22:23], v[84:85], v[70:71]
	v_fma_f64 v[46:47], v[64:65], v[16:17], -v[18:19]
	s_waitcnt vmcnt(10) lgkmcnt(1)
	v_mul_f64 v[16:17], v[157:158], v[80:81]
	v_mul_f64 v[18:19], v[10:11], v[80:81]
	v_fma_f64 v[76:77], v[38:39], v[20:21], v[12:13]
	v_mul_f64 v[12:13], v[155:156], v[74:75]
	v_fma_f64 v[32:33], v[82:83], v[20:21], -v[14:15]
	v_fma_f64 v[70:71], v[40:41], v[68:69], v[22:23]
	v_mul_f64 v[14:15], v[8:9], v[74:75]
	v_fma_f64 v[38:39], v[84:85], v[68:69], -v[86:87]
	v_fma_f64 v[86:87], v[10:11], v[78:79], v[16:17]
	s_waitcnt vmcnt(9) lgkmcnt(0)
	v_mul_f64 v[20:21], v[171:172], v[90:91]
	v_mul_f64 v[22:23], v[28:29], v[90:91]
	v_fma_f64 v[64:65], v[157:158], v[78:79], -v[18:19]
	global_load_dwordx4 v[16:19], v131, s[12:13] offset:48
	s_waitcnt vmcnt(8)
	v_mul_f64 v[78:79], v[24:25], v[98:99]
	v_fma_f64 v[84:85], v[8:9], v[72:73], v[12:13]
	global_load_dwordx4 v[8:11], v127, s[12:13]
	v_mov_b32_e32 v127, 0x120
	v_fma_f64 v[40:41], v[155:156], v[72:73], -v[14:15]
	global_load_dwordx4 v[12:15], v131, s[12:13] offset:32
	v_fma_f64 v[82:83], v[28:29], v[88:89], v[20:21]
	v_fma_f64 v[68:69], v[171:172], v[88:89], -v[22:23]
	global_load_dwordx4 v[20:23], v131, s[12:13] offset:64
	v_mul_f64 v[28:29], v[173:174], v[94:95]
	v_mov_b32_e32 v131, 3
	v_mul_u32_u24_sdwa v121, v121, v127 dst_sel:DWORD dst_unused:UNUSED_PAD src0_sel:WORD_0 src1_sel:DWORD
	v_mul_u32_u24_e32 v127, 0x120, v111
	v_lshlrev_b32_sdwa v114, v131, v114 dst_sel:DWORD dst_unused:UNUSED_PAD src0_sel:DWORD src1_sel:BYTE_0
	v_lshlrev_b32_sdwa v112, v131, v112 dst_sel:DWORD dst_unused:UNUSED_PAD src0_sel:DWORD src1_sel:WORD_0
	v_add3_u32 v111, 0, v121, v114
	v_add3_u32 v109, 0, v109, v112
	v_fma_f64 v[80:81], v[30:31], v[92:93], v[28:29]
	v_mul_f64 v[28:29], v[30:31], v[94:95]
	v_fma_f64 v[72:73], v[173:174], v[92:93], -v[28:29]
	ds_read2_b64 v[28:31], v108 offset0:80 offset1:224
	s_waitcnt lgkmcnt(0)
	v_mul_f64 v[74:75], v[28:29], v[98:99]
	s_waitcnt vmcnt(10)
	v_mul_f64 v[88:89], v[30:31], v[125:126]
	v_fma_f64 v[90:91], v[24:25], v[96:97], v[74:75]
	v_mul_f64 v[24:25], v[26:27], v[125:126]
	v_fma_f64 v[74:75], v[28:29], v[96:97], -v[78:79]
	ds_read2_b64 v[96:99], v107 offset0:48 offset1:192
	v_fma_f64 v[88:89], v[26:27], v[123:124], v[88:89]
	s_waitcnt vmcnt(9) lgkmcnt(0)
	v_mul_f64 v[26:27], v[98:99], v[145:146]
	v_fma_f64 v[78:79], v[30:31], v[123:124], -v[24:25]
	s_waitcnt vmcnt(7)
	v_mul_f64 v[28:29], v[96:97], v[153:154]
	v_mul_f64 v[30:31], v[42:43], v[153:154]
	ds_read2_b64 v[123:126], v106 offset0:48 offset1:192
	v_mul_f64 v[24:25], v[44:45], v[145:146]
	s_waitcnt vmcnt(5)
	v_mul_f64 v[145:146], v[34:35], v[165:166]
	ds_read_b64 v[153:154], v141 offset:26496
	v_add_f64 v[157:158], v[40:41], v[74:75]
	v_fma_f64 v[94:95], v[44:45], v[143:144], v[26:27]
	v_fma_f64 v[44:45], v[42:43], v[151:152], v[28:29]
	s_waitcnt lgkmcnt(1)
	v_mul_f64 v[28:29], v[125:126], v[161:162]
	v_fma_f64 v[42:43], v[96:97], v[151:152], -v[30:31]
	v_mul_f64 v[30:31], v[36:37], v[161:162]
	v_fma_f64 v[92:93], v[98:99], v[143:144], -v[24:25]
	ds_read2_b64 v[24:27], v110 offset0:48 offset1:192
	ds_read_b64 v[98:99], v142
	v_mul_f64 v[143:144], v[123:124], v[165:166]
	v_fma_f64 v[123:124], v[123:124], v[163:164], -v[145:146]
	v_fma_f64 v[96:97], v[36:37], v[159:160], v[28:29]
	v_fma_f64 v[36:37], v[125:126], v[159:160], -v[30:31]
	s_waitcnt vmcnt(4)
	v_mul_f64 v[125:126], v[6:7], v[169:170]
	ds_read2_b64 v[28:31], v122 offset0:48 offset1:192
	s_waitcnt lgkmcnt(2)
	v_mul_f64 v[151:152], v[26:27], v[169:170]
	v_fma_f64 v[34:35], v[34:35], v[163:164], v[143:144]
	ds_read_b64 v[143:144], v130
	v_add_f64 v[159:160], v[52:53], v[70:71]
	v_fma_f64 v[26:27], v[26:27], v[167:168], -v[125:126]
	s_waitcnt lgkmcnt(1)
	v_mul_f64 v[125:126], v[30:31], v[149:150]
	v_mul_f64 v[149:150], v[2:3], v[149:150]
	v_fma_f64 v[6:7], v[6:7], v[167:168], v[151:152]
	v_mul_u32_u24_e32 v151, 0x120, v115
	v_lshlrev_b32_sdwa v115, v131, v113 dst_sel:DWORD dst_unused:UNUSED_PAD src0_sel:DWORD src1_sel:WORD_0
	v_fma_f64 v[2:3], v[2:3], v[147:148], v[125:126]
	v_fma_f64 v[30:31], v[30:31], v[147:148], -v[149:150]
	v_add_f64 v[149:150], v[92:93], -v[26:27]
	v_add_f64 v[147:148], v[36:37], v[30:31]
	s_waitcnt vmcnt(2)
	v_mul_f64 v[155:156], v[98:99], v[10:11]
	v_mul_f64 v[10:11], v[60:61], v[10:11]
	s_waitcnt vmcnt(1)
	v_mul_f64 v[145:146], v[24:25], v[14:15]
	v_mul_f64 v[112:113], v[4:5], v[14:15]
	v_lshlrev_b32_sdwa v15, v131, v120 dst_sel:DWORD dst_unused:UNUSED_PAD src0_sel:DWORD src1_sel:WORD_0
	v_add3_u32 v14, 0, v127, v115
	v_mul_f64 v[114:115], v[28:29], v[18:19]
	v_mul_f64 v[18:19], v[0:1], v[18:19]
	v_add3_u32 v127, 0, v151, v15
	v_add_f64 v[151:152], v[48:49], v[86:87]
	v_fma_f64 v[120:121], v[60:61], v[8:9], v[155:156]
	ds_read_b64 v[60:61], v141
	s_waitcnt vmcnt(0)
	v_mul_f64 v[125:126], v[153:154], v[22:23]
	v_mul_f64 v[22:23], v[58:59], v[22:23]
	v_fma_f64 v[8:9], v[98:99], v[8:9], -v[10:11]
	v_add_f64 v[10:11], v[96:97], v[2:3]
	v_fma_f64 v[4:5], v[4:5], v[12:13], v[145:146]
	v_fma_f64 v[12:13], v[24:25], v[12:13], -v[112:113]
	v_fma_f64 v[0:1], v[0:1], v[16:17], v[114:115]
	v_fma_f64 v[15:16], v[28:29], v[16:17], -v[18:19]
	v_add_f64 v[98:99], v[66:67], v[84:85]
	v_add_f64 v[145:146], v[54:55], v[76:77]
	ds_read_b64 v[24:25], v128
	ds_read_b64 v[112:113], v129
	v_add_f64 v[114:115], v[84:85], v[90:91]
	v_add_f64 v[155:156], v[70:71], v[80:81]
	v_add_f64 v[84:85], v[84:85], -v[90:91]
	v_add_f64 v[70:71], v[70:71], -v[80:81]
	v_add_f64 v[80:81], v[159:160], v[80:81]
	s_waitcnt lgkmcnt(0)
	s_barrier
	buffer_gl0_inv
	v_add_f64 v[17:18], v[120:121], v[96:97]
	v_add_f64 v[96:97], v[96:97], -v[2:3]
	v_fma_f64 v[28:29], v[58:59], v[20:21], v[125:126]
	v_add_f64 v[58:59], v[94:95], v[6:7]
	v_fma_f64 v[19:20], v[153:154], v[20:21], -v[22:23]
	v_add_f64 v[125:126], v[76:77], v[82:83]
	v_fma_f64 v[10:11], v[10:11], -0.5, v[120:121]
	v_add_f64 v[120:121], v[64:65], v[78:79]
	v_add_f64 v[21:22], v[56:57], v[94:95]
	;; [unrolled: 1-line block ×3, first 2 shown]
	v_add_f64 v[76:77], v[76:77], -v[82:83]
	v_add_f64 v[90:91], v[98:99], v[90:91]
	v_add_f64 v[98:99], v[50:51], v[34:35]
	;; [unrolled: 1-line block ×4, first 2 shown]
	v_fma_f64 v[8:9], v[147:148], -0.5, v[8:9]
	v_add_f64 v[147:148], v[46:47], v[64:65]
	v_add_f64 v[86:87], v[86:87], -v[88:89]
	v_add_f64 v[94:95], v[94:95], -v[6:7]
	v_fma_f64 v[66:67], v[114:115], -0.5, v[66:67]
	v_add_f64 v[114:115], v[60:61], v[92:93]
	v_add_f64 v[92:93], v[92:93], v[26:27]
	;; [unrolled: 1-line block ×5, first 2 shown]
	v_fma_f64 v[56:57], v[58:59], -0.5, v[56:57]
	v_add_f64 v[58:59], v[4:5], v[28:29]
	v_fma_f64 v[54:55], v[125:126], -0.5, v[54:55]
	v_add_f64 v[125:126], v[12:13], v[19:20]
	v_fma_f64 v[46:47], v[120:121], -0.5, v[46:47]
	v_add_f64 v[120:121], v[112:113], v[123:124]
	v_add_f64 v[6:7], v[21:22], v[6:7]
	v_add_f64 v[21:22], v[34:35], v[0:1]
	;; [unrolled: 1-line block ×3, first 2 shown]
	v_fma_f64 v[48:49], v[153:154], -0.5, v[48:49]
	v_add_f64 v[153:154], v[143:144], v[32:33]
	v_fma_f64 v[62:63], v[157:158], -0.5, v[62:63]
	v_add_f64 v[4:5], v[4:5], -v[28:29]
	v_fma_f64 v[52:53], v[155:156], -0.5, v[52:53]
	v_add_f64 v[155:156], v[32:33], v[68:69]
	v_add_f64 v[34:35], v[34:35], -v[0:1]
	v_add_f64 v[36:37], v[36:37], -v[30:31]
	;; [unrolled: 1-line block ×3, first 2 shown]
	v_add_f64 v[0:1], v[98:99], v[0:1]
	v_add_f64 v[157:158], v[38:39], v[72:73]
	;; [unrolled: 1-line block ×4, first 2 shown]
	v_add_f64 v[123:124], v[123:124], -v[15:16]
	v_fma_f64 v[44:45], v[58:59], -0.5, v[44:45]
	v_add_f64 v[58:59], v[42:43], v[12:13]
	v_fma_f64 v[42:43], v[125:126], -0.5, v[42:43]
	v_add_f64 v[159:160], v[24:25], v[38:39]
	v_add_f64 v[98:99], v[120:121], v[15:16]
	v_fma_f64 v[15:16], v[96:97], s[6:7], v[8:9]
	v_fma_f64 v[8:9], v[96:97], s[8:9], v[8:9]
	v_add_f64 v[40:41], v[40:41], -v[74:75]
	v_add_f64 v[64:65], v[64:65], -v[78:79]
	;; [unrolled: 1-line block ×3, first 2 shown]
	v_fma_f64 v[21:22], v[21:22], -0.5, v[50:51]
	v_fma_f64 v[50:51], v[92:93], -0.5, v[60:61]
	v_add_f64 v[92:93], v[153:154], v[68:69]
	v_fma_f64 v[68:69], v[84:85], s[6:7], v[62:63]
	v_fma_f64 v[96:97], v[86:87], s[6:7], v[46:47]
	;; [unrolled: 1-line block ×4, first 2 shown]
	v_add_f64 v[12:13], v[12:13], -v[19:20]
	v_add_f64 v[84:85], v[6:7], v[2:3]
	v_add_f64 v[2:3], v[6:7], -v[2:3]
	v_fma_f64 v[28:29], v[28:29], -0.5, v[112:113]
	v_add_f64 v[86:87], v[82:83], v[90:91]
	v_add_f64 v[26:27], v[114:115], v[26:27]
	v_add_f64 v[112:113], v[58:59], v[19:20]
	v_fma_f64 v[6:7], v[4:5], s[6:7], v[42:43]
	v_fma_f64 v[4:5], v[4:5], s[8:9], v[42:43]
	;; [unrolled: 1-line block ×5, first 2 shown]
	v_add_f64 v[54:55], v[82:83], -v[90:91]
	v_mul_f64 v[90:91], v[15:16], s[8:9]
	v_fma_f64 v[10:11], v[36:37], s[6:7], v[10:11]
	v_mul_f64 v[114:115], v[8:9], s[8:9]
	v_add_f64 v[30:31], v[145:146], v[30:31]
	v_fma_f64 v[60:61], v[155:156], -0.5, v[143:144]
	v_fma_f64 v[23:24], v[157:158], -0.5, v[24:25]
	v_fma_f64 v[36:37], v[40:41], s[8:9], v[66:67]
	v_fma_f64 v[40:41], v[40:41], s[6:7], v[66:67]
	;; [unrolled: 1-line block ×4, first 2 shown]
	v_add_f64 v[120:121], v[80:81], v[88:89]
	v_fma_f64 v[38:39], v[38:39], s[6:7], v[52:53]
	v_mul_f64 v[52:53], v[68:69], s[8:9]
	v_fma_f64 v[48:49], v[64:65], s[6:7], v[48:49]
	v_add_f64 v[64:65], v[80:81], -v[88:89]
	v_mul_f64 v[80:81], v[96:97], s[8:9]
	v_mul_f64 v[88:89], v[46:47], s[8:9]
	;; [unrolled: 1-line block ×3, first 2 shown]
	v_fma_f64 v[143:144], v[12:13], s[8:9], v[44:45]
	v_fma_f64 v[12:13], v[12:13], s[6:7], v[44:45]
	v_mul_f64 v[44:45], v[6:7], s[8:9]
	v_mul_f64 v[145:146], v[4:5], s[8:9]
	v_fma_f64 v[58:59], v[149:150], s[8:9], v[56:57]
	v_fma_f64 v[56:57], v[149:150], s[6:7], v[56:57]
	v_add_f64 v[149:150], v[0:1], v[17:18]
	v_add_f64 v[0:1], v[0:1], -v[17:18]
	v_mul_f64 v[8:9], v[8:9], -0.5
	v_fma_f64 v[17:18], v[19:20], 0.5, v[90:91]
	v_fma_f64 v[90:91], v[10:11], -0.5, v[114:115]
	v_mul_f64 v[15:16], v[15:16], 0.5
	v_add_f64 v[74:75], v[151:152], v[74:75]
	v_add_f64 v[78:79], v[147:148], v[78:79]
	v_fma_f64 v[147:148], v[123:124], s[8:9], v[21:22]
	v_fma_f64 v[21:22], v[123:124], s[6:7], v[21:22]
	;; [unrolled: 1-line block ×3, first 2 shown]
	v_add_f64 v[151:152], v[26:27], v[30:31]
	v_fma_f64 v[50:51], v[94:95], s[8:9], v[50:51]
	v_add_f64 v[30:31], v[26:27], -v[30:31]
	v_fma_f64 v[25:26], v[36:37], 0.5, v[52:53]
	v_fma_f64 v[94:95], v[76:77], s[6:7], v[60:61]
	v_fma_f64 v[76:77], v[76:77], s[8:9], v[60:61]
	v_fma_f64 v[60:61], v[66:67], 0.5, v[80:81]
	v_fma_f64 v[80:81], v[48:49], -0.5, v[88:89]
	v_fma_f64 v[88:89], v[70:71], s[6:7], v[23:24]
	v_fma_f64 v[114:115], v[70:71], s[8:9], v[23:24]
	v_mul_f64 v[68:69], v[68:69], 0.5
	v_mul_f64 v[62:63], v[62:63], -0.5
	v_mul_f64 v[70:71], v[96:97], 0.5
	v_fma_f64 v[52:53], v[40:41], -0.5, v[125:126]
	v_mul_f64 v[46:47], v[46:47], -0.5
	v_mul_f64 v[6:7], v[6:7], 0.5
	v_fma_f64 v[23:24], v[143:144], 0.5, v[44:45]
	v_mul_f64 v[4:5], v[4:5], -0.5
	v_fma_f64 v[44:45], v[12:13], -0.5, v[145:146]
	v_fma_f64 v[125:126], v[10:11], s[6:7], v[8:9]
	v_add_f64 v[8:9], v[58:59], v[17:18]
	v_add_f64 v[10:11], v[56:57], v[90:91]
	v_fma_f64 v[96:97], v[19:20], s[6:7], v[15:16]
	v_add_f64 v[15:16], v[58:59], -v[17:18]
	v_add_f64 v[17:18], v[56:57], -v[90:91]
	v_add_f64 v[72:73], v[159:160], v[72:73]
	v_add_f64 v[19:20], v[42:43], v[25:26]
	v_add_f64 v[25:26], v[42:43], -v[25:26]
	v_add_f64 v[42:43], v[82:83], v[60:61]
	v_add_f64 v[58:59], v[82:83], -v[60:61]
	v_fma_f64 v[82:83], v[34:35], s[6:7], v[28:29]
	v_fma_f64 v[28:29], v[34:35], s[8:9], v[28:29]
	;; [unrolled: 1-line block ×5, first 2 shown]
	v_add_f64 v[56:57], v[32:33], v[52:53]
	v_fma_f64 v[48:49], v[48:49], s[6:7], v[46:47]
	v_add_f64 v[32:33], v[32:33], -v[52:53]
	v_add_f64 v[52:53], v[38:39], v[80:81]
	v_add_f64 v[38:39], v[38:39], -v[80:81]
	v_fma_f64 v[90:91], v[143:144], s[6:7], v[6:7]
	v_add_f64 v[60:61], v[147:148], v[23:24]
	v_fma_f64 v[12:13], v[12:13], s[6:7], v[4:5]
	v_add_f64 v[80:81], v[21:22], v[44:45]
	v_add_f64 v[23:24], v[147:148], -v[23:24]
	v_add_f64 v[21:22], v[21:22], -v[44:45]
	ds_write2_b64 v111, v[84:85], v[8:9] offset1:6
	ds_write2_b64 v111, v[10:11], v[2:3] offset0:12 offset1:18
	ds_write2_b64 v111, v[15:16], v[17:18] offset0:24 offset1:30
	ds_write2_b64 v109, v[86:87], v[19:20] offset1:6
	ds_write2_b64 v109, v[56:57], v[54:55] offset0:12 offset1:18
	ds_write2_b64 v109, v[25:26], v[32:33] offset0:24 offset1:30
	;; [unrolled: 3-line block ×4, first 2 shown]
	v_mov_b32_e32 v23, 0xe38f
	v_add_f64 v[145:146], v[123:124], v[96:97]
	v_add_f64 v[147:148], v[50:51], v[125:126]
	v_add_f64 v[32:33], v[123:124], -v[96:97]
	v_add_f64 v[38:39], v[50:51], -v[125:126]
	v_add_f64 v[42:43], v[92:93], v[74:75]
	v_add_f64 v[50:51], v[94:95], v[34:35]
	;; [unrolled: 1-line block ×3, first 2 shown]
	v_add_f64 v[34:35], v[94:95], -v[34:35]
	v_add_f64 v[36:37], v[76:77], -v[36:37]
	v_add_f64 v[76:77], v[72:73], v[78:79]
	v_add_f64 v[72:73], v[72:73], -v[78:79]
	v_add_f64 v[78:79], v[88:89], v[40:41]
	v_add_f64 v[74:75], v[92:93], -v[74:75]
	v_add_f64 v[84:85], v[114:115], v[48:49]
	v_add_f64 v[40:41], v[88:89], -v[40:41]
	v_add_f64 v[48:49], v[114:115], -v[48:49]
	v_mul_u32_u24_sdwa v94, v133, v23 dst_sel:DWORD dst_unused:UNUSED_PAD src0_sel:WORD_0 src1_sel:DWORD
	v_add_f64 v[86:87], v[98:99], v[112:113]
	v_add_f64 v[92:93], v[82:83], v[90:91]
	v_add_f64 v[88:89], v[98:99], -v[112:113]
	v_add_f64 v[82:83], v[82:83], -v[90:91]
	v_add_f64 v[90:91], v[28:29], v[12:13]
	v_add_f64 v[12:13], v[28:29], -v[12:13]
	v_lshrrev_b32_e32 v144, 21, v94
	v_mul_u32_u24_sdwa v28, v134, v23 dst_sel:DWORD dst_unused:UNUSED_PAD src0_sel:WORD_0 src1_sel:DWORD
	s_waitcnt lgkmcnt(0)
	s_barrier
	buffer_gl0_inv
	v_mul_lo_u16 v29, v144, 36
	ds_read_b64 v[66:67], v141
	ds_read_b64 v[62:63], v128
	;; [unrolled: 1-line block ×5, first 2 shown]
	ds_read_b64 v[68:69], v141 offset:26496
	ds_read2_b64 v[24:27], v107 offset0:48 offset1:192
	ds_read2_b64 v[8:11], v106 offset0:48 offset1:192
	;; [unrolled: 1-line block ×9, first 2 shown]
	s_waitcnt lgkmcnt(0)
	s_barrier
	buffer_gl0_inv
	v_sub_nc_u16 v155, v133, v29
	ds_write2_b64 v111, v[151:152], v[145:146] offset1:6
	ds_write2_b64 v111, v[147:148], v[30:31] offset0:12 offset1:18
	ds_write2_b64 v111, v[32:33], v[38:39] offset0:24 offset1:30
	ds_write2_b64 v109, v[42:43], v[50:51] offset1:6
	ds_write2_b64 v109, v[80:81], v[74:75] offset0:12 offset1:18
	ds_write2_b64 v109, v[34:35], v[36:37] offset0:24 offset1:30
	;; [unrolled: 3-line block ×3, first 2 shown]
	v_mul_u32_u24_sdwa v14, v155, v104 dst_sel:DWORD dst_unused:UNUSED_PAD src0_sel:WORD_0 src1_sel:DWORD
	v_lshrrev_b32_e32 v145, 21, v28
	ds_write2_b64 v127, v[86:87], v[92:93] offset1:6
	ds_write2_b64 v127, v[90:91], v[88:89] offset0:12 offset1:18
	ds_write2_b64 v127, v[82:83], v[12:13] offset0:24 offset1:30
	s_waitcnt lgkmcnt(0)
	v_lshlrev_b32_e32 v12, 4, v14
	v_mul_lo_u16 v28, v145, 36
	s_barrier
	buffer_gl0_inv
	v_mul_lo_u16 v14, v105, 57
	global_load_dwordx4 v[32:35], v12, s[12:13] offset:480
	v_sub_nc_u16 v156, v134, v28
	v_lshl_add_u32 v143, v137, 3, 0
	v_lshrrev_b16 v146, 11, v14
	v_mul_u32_u24_sdwa v13, v156, v104 dst_sel:DWORD dst_unused:UNUSED_PAD src0_sel:WORD_0 src1_sel:DWORD
	v_mul_lo_u16 v14, v146, 36
	v_lshlrev_b32_e32 v13, 4, v13
	s_clause 0x8
	global_load_dwordx4 v[40:43], v13, s[12:13] offset:480
	global_load_dwordx4 v[72:75], v12, s[12:13] offset:496
	;; [unrolled: 1-line block ×9, first 2 shown]
	ds_read2_b64 v[76:79], v103 offset0:80 offset1:224
	v_mul_u32_u24_sdwa v12, v135, v23 dst_sel:DWORD dst_unused:UNUSED_PAD src0_sel:WORD_0 src1_sel:DWORD
	v_sub_nc_u16 v150, v132, v14
	v_lshrrev_b32_e32 v147, 21, v12
	v_mul_u32_u24_sdwa v13, v150, v104 dst_sel:DWORD dst_unused:UNUSED_PAD src0_sel:BYTE_0 src1_sel:DWORD
	v_mul_lo_u16 v12, v147, 36
	v_lshlrev_b32_e32 v23, 4, v13
	s_clause 0x1
	global_load_dwordx4 v[170:173], v23, s[12:13] offset:496
	global_load_dwordx4 v[28:31], v23, s[12:13] offset:544
	v_sub_nc_u16 v157, v135, v12
	ds_read2_b64 v[92:95], v101 offset0:16 offset1:160
	v_mul_u32_u24_sdwa v14, v157, v104 dst_sel:DWORD dst_unused:UNUSED_PAD src0_sel:WORD_0 src1_sel:DWORD
	v_lshlrev_b32_e32 v86, 4, v14
	s_clause 0x2
	global_load_dwordx4 v[174:177], v86, s[12:13] offset:480
	global_load_dwordx4 v[48:51], v23, s[12:13] offset:512
	global_load_dwordx4 v[36:39], v86, s[12:13] offset:496
	ds_read2_b64 v[178:181], v100 offset0:80 offset1:224
	s_waitcnt vmcnt(14) lgkmcnt(2)
	v_mul_f64 v[12:13], v[76:77], v[34:35]
	v_mul_f64 v[34:35], v[15:16], v[34:35]
	s_waitcnt vmcnt(13)
	v_mul_f64 v[84:85], v[78:79], v[42:43]
	v_mul_f64 v[42:43], v[17:18], v[42:43]
	v_fma_f64 v[88:89], v[15:16], v[32:33], v[12:13]
	s_waitcnt vmcnt(12) lgkmcnt(1)
	v_mul_f64 v[12:13], v[92:93], v[74:75]
	v_mul_f64 v[14:15], v[19:20], v[74:75]
	v_fma_f64 v[76:77], v[76:77], v[32:33], -v[34:35]
	s_waitcnt vmcnt(11)
	v_mul_f64 v[74:75], v[21:22], v[82:83]
	global_load_dwordx4 v[32:35], v86, s[12:13] offset:512
	v_fma_f64 v[84:85], v[17:18], v[40:41], v[84:85]
	v_mul_f64 v[16:17], v[94:95], v[82:83]
	v_fma_f64 v[78:79], v[78:79], v[40:41], -v[42:43]
	global_load_dwordx4 v[40:43], v23, s[12:13] offset:528
	v_fma_f64 v[96:97], v[19:20], v[72:73], v[12:13]
	v_fma_f64 v[72:73], v[92:93], v[72:73], -v[14:15]
	global_load_dwordx4 v[12:15], v23, s[12:13] offset:480
	v_fma_f64 v[74:75], v[94:95], v[80:81], -v[74:75]
	v_fma_f64 v[92:93], v[21:22], v[80:81], v[16:17]
	s_waitcnt vmcnt(13) lgkmcnt(0)
	v_mul_f64 v[20:21], v[178:179], v[113:114]
	v_mul_f64 v[22:23], v[56:57], v[113:114]
	global_load_dwordx4 v[16:19], v86, s[12:13] offset:528
	v_fma_f64 v[100:101], v[56:57], v[111:112], v[20:21]
	v_fma_f64 v[80:81], v[178:179], v[111:112], -v[22:23]
	global_load_dwordx4 v[20:23], v86, s[12:13] offset:544
	s_waitcnt vmcnt(14)
	v_mul_f64 v[56:57], v[180:181], v[125:126]
	ds_read2_b64 v[111:114], v102 offset0:16 offset1:160
	s_waitcnt vmcnt(12) lgkmcnt(0)
	v_mul_f64 v[86:87], v[113:114], v[160:161]
	v_fma_f64 v[104:105], v[58:59], v[123:124], v[56:57]
	v_mul_f64 v[56:57], v[58:59], v[125:126]
	v_mul_f64 v[58:59], v[52:53], v[153:154]
	v_fma_f64 v[98:99], v[54:55], v[158:159], v[86:87]
	v_fma_f64 v[82:83], v[180:181], v[123:124], -v[56:57]
	v_mul_f64 v[56:57], v[111:112], v[153:154]
	ds_read2_b64 v[123:126], v108 offset0:80 offset1:224
	v_fma_f64 v[58:59], v[111:112], v[151:152], -v[58:59]
	s_waitcnt vmcnt(10)
	v_mul_f64 v[111:112], v[46:47], v[168:169]
	s_waitcnt lgkmcnt(0)
	v_mul_f64 v[94:95], v[125:126], v[168:169]
	v_fma_f64 v[102:103], v[52:53], v[151:152], v[56:57]
	v_mul_f64 v[56:57], v[44:45], v[164:165]
	v_mul_f64 v[52:53], v[54:55], v[160:161]
	;; [unrolled: 1-line block ×3, first 2 shown]
	ds_read2_b64 v[151:154], v107 offset0:48 offset1:192
	v_fma_f64 v[90:91], v[123:124], v[162:163], -v[56:57]
	s_waitcnt vmcnt(9) lgkmcnt(0)
	v_mul_f64 v[56:57], v[153:154], v[172:173]
	v_fma_f64 v[86:87], v[113:114], v[158:159], -v[52:53]
	v_fma_f64 v[108:109], v[44:45], v[162:163], v[54:55]
	ds_read2_b64 v[52:55], v106 offset0:48 offset1:192
	v_mul_f64 v[114:115], v[26:27], v[172:173]
	s_waitcnt vmcnt(7)
	v_mul_f64 v[148:149], v[151:152], v[176:177]
	v_fma_f64 v[106:107], v[46:47], v[166:167], v[94:95]
	v_fma_f64 v[94:95], v[125:126], v[166:167], -v[111:112]
	s_waitcnt vmcnt(6)
	v_mul_f64 v[126:127], v[10:11], v[50:51]
	ds_read2_b64 v[44:47], v110 offset0:48 offset1:192
	v_mul_f64 v[158:159], v[24:25], v[176:177]
	v_fma_f64 v[112:113], v[26:27], v[170:171], v[56:57]
	s_waitcnt vmcnt(5) lgkmcnt(1)
	v_mul_f64 v[120:121], v[52:53], v[38:39]
	v_mul_f64 v[56:57], v[8:9], v[38:39]
	;; [unrolled: 1-line block ×3, first 2 shown]
	v_fma_f64 v[110:111], v[153:154], v[170:171], -v[114:115]
	ds_read_b64 v[114:115], v142
	v_fma_f64 v[50:51], v[24:25], v[174:175], v[148:149]
	ds_read2_b64 v[24:27], v122 offset0:48 offset1:192
	v_fma_f64 v[54:55], v[54:55], v[48:49], -v[126:127]
	ds_read_b64 v[126:127], v141 offset:26496
	v_add_nc_u32_e32 v148, 0xffffffb8, v132
	v_fma_f64 v[38:39], v[151:152], v[174:175], -v[158:159]
	v_mul_u32_u24_e32 v151, 3, v132
	v_mov_b32_e32 v152, 0x6c0
	v_mul_u32_u24_e32 v158, 0x6c0, v147
	v_add_nc_u32_e32 v147, 0x5800, v141
	v_fma_f64 v[8:9], v[8:9], v[36:37], v[120:121]
	v_fma_f64 v[36:37], v[52:53], v[36:37], -v[56:57]
	v_fma_f64 v[10:11], v[10:11], v[48:49], v[124:125]
	v_cndmask_b32_e64 v48, v148, v133, s0
	s_waitcnt lgkmcnt(1)
	v_mul_f64 v[148:149], v[26:27], v[30:31]
	v_mul_f64 v[30:31], v[2:3], v[30:31]
	v_lshlrev_b32_e32 v49, 4, v151
	ds_read_b64 v[124:125], v130
	v_mov_b32_e32 v57, 0
	v_mul_i32_i24_e32 v56, 3, v48
	v_add_nc_u32_e32 v151, 0x2c00, v141
	v_add_co_u32 v153, s0, s12, v49
	v_mul_u32_u24_sdwa v49, v146, v152 dst_sel:DWORD dst_unused:UNUSED_PAD src0_sel:WORD_0 src1_sel:DWORD
	v_add_co_ci_u32_e64 v154, null, s13, 0, s0
	v_add_nc_u32_e32 v146, 0x1800, v141
	v_add_nc_u32_e32 v152, 0x4800, v141
	v_fma_f64 v[2:3], v[2:3], v[28:29], v[148:149]
	v_fma_f64 v[26:27], v[26:27], v[28:29], -v[30:31]
	v_lshlrev_b32_sdwa v28, v131, v150 dst_sel:DWORD dst_unused:UNUSED_PAD src0_sel:DWORD src1_sel:BYTE_0
	v_lshlrev_b32_sdwa v30, v131, v155 dst_sel:DWORD dst_unused:UNUSED_PAD src0_sel:DWORD src1_sel:WORD_0
	v_lshlrev_b32_sdwa v31, v131, v156 dst_sel:DWORD dst_unused:UNUSED_PAD src0_sel:DWORD src1_sel:WORD_0
	v_add_nc_u32_e32 v149, 0x2400, v141
	v_add_nc_u32_e32 v148, 0x3c00, v141
	;; [unrolled: 1-line block ×3, first 2 shown]
	v_add_f64 v[155:156], v[54:55], v[26:27]
	s_waitcnt vmcnt(4)
	v_mul_f64 v[120:121], v[44:45], v[34:35]
	v_mul_f64 v[34:35], v[4:5], v[34:35]
	s_waitcnt vmcnt(3)
	v_mul_f64 v[122:123], v[46:47], v[42:43]
	v_mul_f64 v[42:43], v[6:7], v[42:43]
	;; [unrolled: 3-line block ×3, first 2 shown]
	v_fma_f64 v[4:5], v[4:5], v[32:33], v[120:121]
	v_fma_f64 v[32:33], v[44:45], v[32:33], -v[34:35]
	ds_read_b64 v[34:35], v141
	v_lshlrev_b64 v[120:121], 4, v[56:57]
	v_fma_f64 v[6:7], v[6:7], v[40:41], v[122:123]
	v_fma_f64 v[40:41], v[46:47], v[40:41], -v[42:43]
	s_waitcnt vmcnt(1)
	v_mul_f64 v[42:43], v[24:25], v[18:19]
	v_mul_f64 v[18:19], v[0:1], v[18:19]
	v_mul_u32_u24_e32 v122, 0x6c0, v144
	v_mul_u32_u24_e32 v123, 0x6c0, v145
	v_add_nc_u32_e32 v144, 0x3400, v141
	v_add_nc_u32_e32 v145, 0x5000, v141
	v_add3_u32 v159, 0, v122, v30
	v_add3_u32 v160, 0, v123, v31
	v_add_f64 v[30:31], v[10:11], v[2:3]
	v_fma_f64 v[46:47], v[70:71], v[12:13], v[52:53]
	v_fma_f64 v[12:13], v[114:115], v[12:13], -v[14:15]
	v_add_f64 v[14:15], v[88:89], v[100:101]
	v_add_f64 v[70:71], v[64:65], v[96:97]
	;; [unrolled: 1-line block ×4, first 2 shown]
	v_add_f64 v[104:105], v[104:105], -v[106:107]
	s_waitcnt vmcnt(0) lgkmcnt(2)
	v_mul_f64 v[44:45], v[126:127], v[22:23]
	v_mul_f64 v[22:23], v[68:69], v[22:23]
	v_fma_f64 v[0:1], v[0:1], v[16:17], v[42:43]
	v_lshlrev_b32_sdwa v42, v131, v157 dst_sel:DWORD dst_unused:UNUSED_PAD src0_sel:DWORD src1_sel:WORD_0
	v_add3_u32 v157, 0, v49, v28
	v_fma_f64 v[16:17], v[24:25], v[16:17], -v[18:19]
	v_add_f64 v[18:19], v[112:113], v[6:7]
	v_add3_u32 v158, 0, v158, v42
	v_add_f64 v[42:43], v[66:67], v[112:113]
	v_add_f64 v[112:113], v[112:113], -v[6:7]
	v_add_f64 v[28:29], v[46:47], v[10:11]
	v_add_f64 v[10:11], v[10:11], -v[2:3]
	v_fma_f64 v[30:31], v[30:31], -0.5, v[46:47]
	v_add_f64 v[46:47], v[50:51], v[4:5]
	v_add_f64 v[14:15], v[14:15], v[108:109]
	v_add_f64 v[70:71], v[70:71], v[102:103]
	v_fma_f64 v[84:85], v[122:123], -0.5, v[84:85]
	v_add_f64 v[122:123], v[12:13], v[54:55]
	v_fma_f64 v[12:13], v[155:156], -0.5, v[12:13]
	v_add_f64 v[106:107], v[114:115], v[106:107]
	v_add_f64 v[114:115], v[110:111], v[40:41]
	v_fma_f64 v[24:25], v[68:69], v[20:21], v[44:45]
	v_add_f64 v[68:69], v[96:97], v[102:103]
	v_fma_f64 v[20:21], v[126:127], v[20:21], -v[22:23]
	v_add_f64 v[22:23], v[100:101], v[108:109]
	ds_read_b64 v[44:45], v128
	ds_read_b64 v[52:53], v129
	v_add_f64 v[126:127], v[92:93], v[98:99]
	v_fma_f64 v[18:19], v[18:19], -0.5, v[66:67]
	v_add_f64 v[100:101], v[100:101], -v[108:109]
	v_add_f64 v[108:109], v[60:61], v[8:9]
	v_add_f64 v[6:7], v[42:43], v[6:7]
	;; [unrolled: 1-line block ×5, first 2 shown]
	v_add_f64 v[96:97], v[96:97], -v[102:103]
	v_add_f64 v[92:93], v[92:93], -v[98:99]
	s_waitcnt lgkmcnt(2)
	v_add_f64 v[102:103], v[34:35], v[110:111]
	v_add_f64 v[110:111], v[110:111], -v[40:41]
	v_add_f64 v[8:9], v[8:9], -v[0:1]
	;; [unrolled: 1-line block ×3, first 2 shown]
	v_add_f64 v[155:156], v[72:73], v[58:59]
	v_add_f64 v[26:27], v[122:123], v[26:27]
	v_fma_f64 v[34:35], v[114:115], -0.5, v[34:35]
	v_add_f64 v[66:67], v[4:5], v[24:25]
	v_fma_f64 v[64:65], v[68:69], -0.5, v[64:65]
	;; [unrolled: 2-line block ×3, first 2 shown]
	v_add_f64 v[88:89], v[80:81], v[90:91]
	v_add_f64 v[4:5], v[4:5], -v[24:25]
	v_fma_f64 v[62:63], v[126:127], -0.5, v[62:63]
	v_add_f64 v[126:127], v[124:125], v[72:73]
	v_add_f64 v[24:25], v[46:47], v[24:25]
	;; [unrolled: 1-line block ×3, first 2 shown]
	v_fma_f64 v[42:43], v[42:43], -0.5, v[60:61]
	v_add_f64 v[60:61], v[74:75], v[86:87]
	v_add_f64 v[28:29], v[28:29], v[98:99]
	;; [unrolled: 1-line block ×4, first 2 shown]
	s_waitcnt lgkmcnt(1)
	v_add_f64 v[108:109], v[44:45], v[74:75]
	v_add_f64 v[40:41], v[102:103], v[40:41]
	;; [unrolled: 1-line block ×3, first 2 shown]
	v_add_f64 v[72:73], v[72:73], -v[58:59]
	v_add_f64 v[80:81], v[80:81], -v[90:91]
	;; [unrolled: 1-line block ×4, first 2 shown]
	v_fma_f64 v[49:50], v[66:67], -0.5, v[50:51]
	v_add_f64 v[66:67], v[78:79], v[82:83]
	v_fma_f64 v[68:69], v[68:69], -0.5, v[78:79]
	s_waitcnt lgkmcnt(0)
	v_add_f64 v[78:79], v[52:53], v[36:37]
	v_fma_f64 v[76:77], v[88:89], -0.5, v[76:77]
	v_add_f64 v[88:89], v[36:37], v[16:17]
	v_add_f64 v[82:83], v[82:83], -v[94:95]
	v_add_f64 v[36:37], v[36:37], -v[16:17]
	v_add_f64 v[58:59], v[126:127], v[58:59]
	v_add_f64 v[46:47], v[46:47], v[90:91]
	;; [unrolled: 1-line block ×3, first 2 shown]
	v_fma_f64 v[44:45], v[60:61], -0.5, v[44:45]
	v_add_f64 v[2:3], v[6:7], -v[2:3]
	v_fma_f64 v[38:39], v[98:99], -0.5, v[38:39]
	v_fma_f64 v[98:99], v[155:156], -0.5, v[124:125]
	v_add_f64 v[60:61], v[108:109], v[86:87]
	v_fma_f64 v[86:87], v[54:55], s[8:9], v[30:31]
	v_add_f64 v[20:21], v[102:103], v[20:21]
	v_add_f64 v[102:103], v[40:41], v[26:27]
	v_add_co_u32 v114, s0, 0x800, v153
	v_add_co_ci_u32_e64 v115, s0, 0, v154, s0
	v_add_f64 v[66:67], v[66:67], v[94:95]
	v_add_f64 v[94:95], v[28:29], v[106:107]
	;; [unrolled: 1-line block ×3, first 2 shown]
	v_fma_f64 v[78:79], v[10:11], s[6:7], v[12:13]
	v_fma_f64 v[10:11], v[10:11], s[8:9], v[12:13]
	v_fma_f64 v[51:52], v[88:89], -0.5, v[52:53]
	v_fma_f64 v[88:89], v[110:111], s[8:9], v[18:19]
	v_fma_f64 v[12:13], v[110:111], s[6:7], v[18:19]
	;; [unrolled: 1-line block ×4, first 2 shown]
	v_add_f64 v[55:56], v[70:71], v[14:15]
	v_add_f64 v[14:15], v[70:71], -v[14:15]
	v_fma_f64 v[70:71], v[104:105], s[6:7], v[68:69]
	v_fma_f64 v[76:77], v[100:101], s[8:9], v[76:77]
	;; [unrolled: 1-line block ×13, first 2 shown]
	v_add_f64 v[104:105], v[40:41], -v[26:27]
	v_mul_f64 v[26:27], v[78:79], s[8:9]
	v_mul_f64 v[40:41], v[10:11], s[8:9]
	v_mul_f64 v[78:79], v[78:79], 0.5
	v_add_f64 v[28:29], v[28:29], -v[106:107]
	v_fma_f64 v[84:85], v[32:33], s[8:9], v[49:50]
	v_fma_f64 v[32:33], v[32:33], s[6:7], v[49:50]
	v_add_f64 v[106:107], v[58:59], v[46:47]
	v_mul_f64 v[49:50], v[6:7], s[8:9]
	v_add_f64 v[46:47], v[58:59], -v[46:47]
	v_mul_f64 v[58:59], v[70:71], s[8:9]
	v_mul_f64 v[10:11], v[10:11], -0.5
	v_mul_f64 v[108:109], v[76:77], s[8:9]
	v_mul_f64 v[6:7], v[6:7], 0.5
	v_mul_f64 v[76:77], v[76:77], -0.5
	v_fma_f64 v[100:101], v[36:37], s[8:9], v[42:43]
	v_fma_f64 v[36:37], v[36:37], s[6:7], v[42:43]
	;; [unrolled: 1-line block ×4, first 2 shown]
	v_mul_f64 v[98:99], v[68:69], s[8:9]
	v_mul_f64 v[70:71], v[70:71], 0.5
	v_fma_f64 v[110:111], v[92:93], s[6:7], v[44:45]
	v_fma_f64 v[44:45], v[92:93], s[8:9], v[44:45]
	v_mul_f64 v[92:93], v[82:83], s[8:9]
	v_mul_f64 v[68:69], v[68:69], -0.5
	v_add_f64 v[38:39], v[0:1], v[24:25]
	v_add_f64 v[0:1], v[0:1], -v[24:25]
	v_fma_f64 v[24:25], v[112:113], s[6:7], v[34:35]
	v_fma_f64 v[34:35], v[112:113], s[8:9], v[34:35]
	v_mul_f64 v[112:113], v[4:5], s[8:9]
	v_mul_f64 v[82:83], v[82:83], 0.5
	v_mul_f64 v[4:5], v[4:5], -0.5
	v_fma_f64 v[26:27], v[86:87], 0.5, v[26:27]
	v_fma_f64 v[40:41], v[18:19], -0.5, v[40:41]
	v_fma_f64 v[78:79], v[86:87], s[6:7], v[78:79]
	v_fma_f64 v[49:50], v[30:31], 0.5, v[49:50]
	v_fma_f64 v[58:59], v[72:73], 0.5, v[58:59]
	v_fma_f64 v[10:11], v[18:19], s[6:7], v[10:11]
	v_fma_f64 v[122:123], v[8:9], s[6:7], v[51:52]
	;; [unrolled: 1-line block ×3, first 2 shown]
	v_fma_f64 v[51:52], v[22:23], -0.5, v[108:109]
	v_fma_f64 v[6:7], v[30:31], s[6:7], v[6:7]
	v_fma_f64 v[18:19], v[22:23], s[6:7], v[76:77]
	v_add_f64 v[108:109], v[60:61], v[66:67]
	v_add_f64 v[60:61], v[60:61], -v[66:67]
	v_fma_f64 v[66:67], v[74:75], -0.5, v[98:99]
	v_fma_f64 v[22:23], v[72:73], s[6:7], v[70:71]
	v_add_f64 v[98:99], v[16:17], v[20:21]
	v_add_f64 v[124:125], v[16:17], -v[20:21]
	v_fma_f64 v[16:17], v[84:85], 0.5, v[92:93]
	v_fma_f64 v[30:31], v[74:75], s[6:7], v[68:69]
	v_fma_f64 v[20:21], v[32:33], -0.5, v[112:113]
	v_fma_f64 v[68:69], v[84:85], s[6:7], v[82:83]
	v_fma_f64 v[4:5], v[32:33], s[6:7], v[4:5]
	v_add_f64 v[32:33], v[88:89], v[26:27]
	v_add_f64 v[70:71], v[12:13], v[40:41]
	v_add_f64 v[26:27], v[88:89], -v[26:27]
	v_add_f64 v[12:13], v[12:13], -v[40:41]
	v_add_f64 v[76:77], v[24:25], v[78:79]
	v_add_f64 v[40:41], v[53:54], v[49:50]
	v_add_f64 v[49:50], v[53:54], -v[49:50]
	v_add_f64 v[53:54], v[80:81], v[58:59]
	v_add_f64 v[58:59], v[80:81], -v[58:59]
	v_add_f64 v[80:81], v[34:35], v[10:11]
	v_add_f64 v[72:73], v[64:65], v[51:52]
	v_add_f64 v[78:79], v[24:25], -v[78:79]
	v_add_f64 v[82:83], v[34:35], -v[10:11]
	;; [unrolled: 1-line block ×3, first 2 shown]
	v_add_f64 v[84:85], v[42:43], v[6:7]
	v_add_f64 v[88:89], v[96:97], v[18:19]
	;; [unrolled: 1-line block ×3, first 2 shown]
	v_add_f64 v[86:87], v[42:43], -v[6:7]
	v_add_f64 v[92:93], v[96:97], -v[18:19]
	;; [unrolled: 1-line block ×3, first 2 shown]
	v_add_f64 v[96:97], v[110:111], v[22:23]
	v_add_f64 v[66:67], v[100:101], v[16:17]
	v_add_f64 v[16:17], v[100:101], -v[16:17]
	v_add_f64 v[100:101], v[110:111], -v[22:23]
	v_add_f64 v[110:111], v[44:45], v[30:31]
	v_add_f64 v[74:75], v[36:37], v[20:21]
	v_add_f64 v[112:113], v[44:45], -v[30:31]
	v_add_f64 v[20:21], v[36:37], -v[20:21]
	v_add_f64 v[126:127], v[122:123], v[68:69]
	v_add_f64 v[68:69], v[122:123], -v[68:69]
	v_add_f64 v[122:123], v[8:9], v[4:5]
	v_add_f64 v[155:156], v[8:9], -v[4:5]
	s_barrier
	buffer_gl0_inv
	ds_write2_b64 v157, v[90:91], v[32:33] offset1:36
	ds_write2_b64 v157, v[70:71], v[2:3] offset0:72 offset1:108
	ds_write2_b64 v157, v[26:27], v[12:13] offset0:144 offset1:180
	ds_write2_b64 v159, v[55:56], v[40:41] offset1:36
	ds_write2_b64 v159, v[72:73], v[14:15] offset0:72 offset1:108
	ds_write2_b64 v159, v[49:50], v[51:52] offset0:144 offset1:180
	;; [unrolled: 3-line block ×4, first 2 shown]
	v_add_co_u32 v28, s0, s12, v120
	s_waitcnt lgkmcnt(0)
	s_barrier
	buffer_gl0_inv
	ds_read_b64 v[22:23], v128
	ds_read_b64 v[20:21], v129
	;; [unrolled: 1-line block ×6, first 2 shown]
	ds_read2_b64 v[29:32], v146 offset0:96 offset1:240
	ds_read2_b64 v[33:36], v144 offset0:64 offset1:208
	;; [unrolled: 1-line block ×3, first 2 shown]
	ds_read2_b64 v[41:44], v149 offset1:144
	ds_read2_b64 v[4:7], v148 offset0:96 offset1:240
	ds_read2_b64 v[49:52], v147 offset0:64 offset1:208
	;; [unrolled: 1-line block ×3, first 2 shown]
	ds_read2_b64 v[0:3], v152 offset1:144
	ds_read2_b64 v[8:11], v150 offset0:96 offset1:240
	s_waitcnt lgkmcnt(0)
	s_barrier
	buffer_gl0_inv
	ds_write2_b64 v157, v[102:103], v[76:77] offset1:36
	ds_write2_b64 v157, v[80:81], v[104:105] offset0:72 offset1:108
	ds_write2_b64 v157, v[78:79], v[82:83] offset0:144 offset1:180
	ds_write2_b64 v159, v[106:107], v[84:85] offset1:36
	ds_write2_b64 v159, v[88:89], v[46:47] offset0:72 offset1:108
	ds_write2_b64 v159, v[86:87], v[92:93] offset0:144 offset1:180
	;; [unrolled: 3-line block ×4, first 2 shown]
	v_add_co_ci_u32_e64 v47, s0, s13, v121, s0
	v_add_co_u32 v45, s0, 0x800, v28
	s_waitcnt lgkmcnt(0)
	v_add_co_ci_u32_e64 v46, s0, 0, v47, s0
	s_barrier
	buffer_gl0_inv
	s_clause 0x1
	global_load_dwordx4 v[53:56], v[114:115], off offset:1312
	global_load_dwordx4 v[58:61], v[45:46], off offset:1312
	v_add_co_u32 v45, s0, 0xd20, v153
	v_add_co_ci_u32_e64 v46, s0, 0, v154, s0
	v_add_co_u32 v74, s0, 0xd20, v28
	v_add_co_ci_u32_e64 v75, s0, 0, v47, s0
	s_clause 0x3
	global_load_dwordx4 v[62:65], v[45:46], off offset:16
	global_load_dwordx4 v[66:69], v[74:75], off offset:16
	;; [unrolled: 1-line block ×4, first 2 shown]
	v_lshrrev_b16 v28, 3, v135
	v_mov_b32_e32 v47, 0x12f7
	v_add_co_u32 v45, s0, 0x1800, v153
	v_add_co_ci_u32_e64 v46, s0, 0, v154, s0
	v_mul_u32_u24_sdwa v28, v28, v47 dst_sel:DWORD dst_unused:UNUSED_PAD src0_sel:WORD_0 src1_sel:DWORD
	v_lshrrev_b16 v83, 3, v136
	ds_read2_b64 v[102:105], v144 offset0:64 offset1:208
	global_load_dwordx4 v[78:81], v[45:46], off offset:672
	v_lshrrev_b32_e32 v28, 17, v28
	v_mul_lo_u16 v28, 0xd8, v28
	v_sub_nc_u16 v28, v135, v28
	v_and_b32_e32 v28, 0xffff, v28
	v_mul_u32_u24_e32 v82, 3, v28
	v_lshlrev_b32_e32 v45, 4, v82
	v_lshrrev_b16 v82, 3, v137
	v_add_co_u32 v86, s0, s12, v45
	v_add_co_ci_u32_e64 v87, null, s13, 0, s0
	v_mul_u32_u24_sdwa v88, v82, v47 dst_sel:DWORD dst_unused:UNUSED_PAD src0_sel:WORD_0 src1_sel:DWORD
	v_add_co_u32 v45, s0, 0x800, v86
	v_add_co_ci_u32_e64 v46, s0, 0, v87, s0
	v_mul_u32_u24_sdwa v47, v83, v47 dst_sel:DWORD dst_unused:UNUSED_PAD src0_sel:WORD_0 src1_sel:DWORD
	global_load_dwordx4 v[82:85], v[45:46], off offset:1312
	v_lshrrev_b32_e32 v45, 17, v88
	v_lshrrev_b32_e32 v159, 17, v47
	v_mul_lo_u16 v47, 0xd8, v45
	v_mul_lo_u16 v88, 0xd8, v159
	v_add_co_u32 v45, s0, 0x1aa0, v153
	v_add_co_ci_u32_e64 v46, s0, 0, v154, s0
	v_sub_nc_u16 v160, v136, v88
	v_sub_nc_u16 v47, v137, v47
	v_add_co_u32 v110, s0, 0xd20, v86
	v_add_co_ci_u32_e64 v111, s0, 0, v87, s0
	v_mul_u32_u24_sdwa v98, v160, v131 dst_sel:DWORD dst_unused:UNUSED_PAD src0_sel:WORD_0 src1_sel:DWORD
	v_and_b32_e32 v161, 0xffff, v47
	ds_read2_b64 v[86:89], v146 offset0:96 offset1:240
	s_clause 0x1
	global_load_dwordx4 v[90:93], v[45:46], off offset:32
	global_load_dwordx4 v[94:97], v[110:111], off offset:32
	v_lshlrev_b32_e32 v47, 4, v98
	v_mul_u32_u24_e32 v98, 3, v161
	v_add_co_u32 v47, s0, s12, v47
	v_add_co_ci_u32_e64 v121, null, s13, 0, s0
	v_lshlrev_b32_e32 v100, 4, v98
	v_add_co_u32 v98, s0, 0x800, v47
	v_add_co_ci_u32_e64 v99, s0, 0, v121, s0
	v_add_co_u32 v126, s0, s12, v100
	v_add_co_ci_u32_e64 v127, null, s13, 0, s0
	global_load_dwordx4 v[98:101], v[98:99], off offset:1312
	v_add_co_u32 v106, s0, 0x800, v126
	v_add_co_ci_u32_e64 v107, s0, 0, v127, s0
	v_add_co_u32 v120, s0, 0xd20, v47
	v_add_co_ci_u32_e64 v121, s0, 0, v121, s0
	global_load_dwordx4 v[106:109], v[106:107], off offset:1312
	v_add_co_u32 v126, s0, 0xd20, v126
	v_add_co_ci_u32_e64 v127, s0, 0, v127, s0
	v_lshl_add_u32 v47, v132, 3, 0
	v_cmp_lt_u32_e64 s0, 0x47, v132
	s_waitcnt vmcnt(11) lgkmcnt(0)
	v_mul_f64 v[112:113], v[86:87], v[55:56]
	v_mul_f64 v[55:56], v[29:30], v[55:56]
	s_waitcnt vmcnt(10)
	v_mul_f64 v[114:115], v[88:89], v[60:61]
	v_mul_f64 v[60:61], v[31:32], v[60:61]
	s_waitcnt vmcnt(9)
	v_mul_f64 v[155:156], v[102:103], v[64:65]
	v_mul_f64 v[64:65], v[33:34], v[64:65]
	v_fma_f64 v[122:123], v[29:30], v[53:54], v[112:113]
	v_fma_f64 v[124:125], v[86:87], v[53:54], -v[55:56]
	global_load_dwordx4 v[53:56], v[120:121], off offset:32
	v_fma_f64 v[114:115], v[31:32], v[58:59], v[114:115]
	global_load_dwordx4 v[29:32], v[126:127], off offset:32
	v_fma_f64 v[157:158], v[88:89], v[58:59], -v[60:61]
	s_clause 0x2
	global_load_dwordx4 v[58:61], v[45:46], off offset:16
	global_load_dwordx4 v[86:89], v[110:111], off offset:16
	;; [unrolled: 1-line block ×3, first 2 shown]
	v_fma_f64 v[45:46], v[33:34], v[62:63], v[155:156]
	v_fma_f64 v[102:103], v[102:103], v[62:63], -v[64:65]
	global_load_dwordx4 v[62:65], v[126:127], off offset:16
	s_waitcnt vmcnt(14)
	v_mul_f64 v[33:34], v[104:105], v[68:69]
	v_add_nc_u32_e32 v155, 0xd00, v141
	v_fma_f64 v[120:121], v[35:36], v[66:67], v[33:34]
	v_mul_f64 v[33:34], v[35:36], v[68:69]
	v_fma_f64 v[66:67], v[104:105], v[66:67], -v[33:34]
	ds_read2_b64 v[33:36], v145 offset0:32 offset1:176
	s_waitcnt vmcnt(13) lgkmcnt(0)
	v_mul_f64 v[68:69], v[33:34], v[72:73]
	v_mul_f64 v[72:73], v[37:38], v[72:73]
	s_waitcnt vmcnt(12)
	v_mul_f64 v[104:105], v[35:36], v[76:77]
	v_fma_f64 v[68:69], v[37:38], v[70:71], v[68:69]
	v_fma_f64 v[70:71], v[33:34], v[70:71], -v[72:73]
	v_mul_f64 v[33:34], v[39:40], v[76:77]
	v_fma_f64 v[72:73], v[39:40], v[74:75], v[104:105]
	ds_read2_b64 v[37:40], v149 offset1:144
	s_waitcnt vmcnt(11) lgkmcnt(0)
	v_mul_f64 v[76:77], v[37:38], v[80:81]
	v_mul_f64 v[80:81], v[41:42], v[80:81]
	s_waitcnt vmcnt(10)
	v_mul_f64 v[104:105], v[39:40], v[84:85]
	v_fma_f64 v[74:75], v[35:36], v[74:75], -v[33:34]
	ds_read2_b64 v[33:36], v147 offset0:64 offset1:208
	v_fma_f64 v[76:77], v[41:42], v[78:79], v[76:77]
	v_fma_f64 v[78:79], v[37:38], v[78:79], -v[80:81]
	v_mul_f64 v[37:38], v[43:44], v[84:85]
	s_waitcnt vmcnt(9) lgkmcnt(0)
	v_mul_f64 v[41:42], v[33:34], v[92:93]
	v_fma_f64 v[80:81], v[43:44], v[82:83], v[104:105]
	v_mul_f64 v[43:44], v[49:50], v[92:93]
	s_waitcnt vmcnt(8)
	v_mul_f64 v[84:85], v[35:36], v[96:97]
	v_mul_f64 v[92:93], v[51:52], v[96:97]
	v_fma_f64 v[82:83], v[39:40], v[82:83], -v[37:38]
	ds_read2_b64 v[37:40], v151 offset0:32 offset1:176
	v_fma_f64 v[49:50], v[49:50], v[90:91], v[41:42]
	v_fma_f64 v[90:91], v[33:34], v[90:91], -v[43:44]
	ds_read2_b64 v[41:44], v150 offset0:96 offset1:240
	v_fma_f64 v[51:52], v[51:52], v[94:95], v[84:85]
	s_waitcnt vmcnt(7)
	v_mul_f64 v[84:85], v[12:13], v[100:101]
	v_fma_f64 v[92:93], v[35:36], v[94:95], -v[92:93]
	s_waitcnt vmcnt(6)
	v_mul_f64 v[94:95], v[14:15], v[108:109]
	ds_read2_b64 v[33:36], v148 offset0:96 offset1:240
	s_waitcnt lgkmcnt(2)
	v_mul_f64 v[96:97], v[37:38], v[100:101]
	v_mul_f64 v[100:101], v[39:40], v[108:109]
	v_add_nc_u32_e32 v108, 0x1d00, v47
	v_add_nc_u32_e32 v109, 0x2a00, v47
	v_add_f64 v[49:50], v[76:77], -v[49:50]
	v_add_f64 v[51:52], v[80:81], -v[51:52]
	v_fma_f64 v[37:38], v[37:38], v[98:99], -v[84:85]
	v_fma_f64 v[39:40], v[39:40], v[106:107], -v[94:95]
	v_lshlrev_b32_e32 v95, 3, v48
	v_cndmask_b32_e64 v94, 0, 0x1b00, s0
	v_add3_u32 v156, 0, v94, v95
	v_mul_u32_u24_e32 v94, 0x1b00, v159
	v_lshlrev_b32_sdwa v95, v131, v160 dst_sel:DWORD dst_unused:UNUSED_PAD src0_sel:DWORD src1_sel:WORD_0
	v_add_nc_u32_e32 v159, 0xd00, v156
	v_fma_f64 v[96:97], v[12:13], v[98:99], v[96:97]
	v_fma_f64 v[98:99], v[14:15], v[106:107], v[100:101]
	ds_read2_b64 v[12:15], v152 offset1:144
	v_lshl_add_u32 v100, v28, 3, 0
	v_fma_f64 v[76:77], v[76:77], 2.0, -v[49:50]
	v_add3_u32 v160, 0, v94, v95
	v_fma_f64 v[80:81], v[80:81], 2.0, -v[51:52]
	v_lshl_add_u32 v94, v161, 3, 0
	v_add_nc_u32_e32 v161, 0xd00, v160
	v_add_nc_u32_e32 v162, 0x5000, v94
	;; [unrolled: 1-line block ×3, first 2 shown]
	s_waitcnt vmcnt(5) lgkmcnt(2)
	v_mul_f64 v[104:105], v[41:42], v[55:56]
	v_mul_f64 v[55:56], v[8:9], v[55:56]
	s_waitcnt vmcnt(4)
	v_mul_f64 v[84:85], v[43:44], v[31:32]
	v_mul_f64 v[31:32], v[10:11], v[31:32]
	s_waitcnt vmcnt(3) lgkmcnt(1)
	v_mul_f64 v[47:48], v[33:34], v[60:61]
	v_fma_f64 v[8:9], v[8:9], v[53:54], v[104:105]
	v_fma_f64 v[41:42], v[41:42], v[53:54], -v[55:56]
	s_waitcnt vmcnt(2)
	v_mul_f64 v[55:56], v[35:36], v[88:89]
	v_mul_f64 v[53:54], v[4:5], v[60:61]
	s_waitcnt vmcnt(1) lgkmcnt(0)
	v_mul_f64 v[60:61], v[12:13], v[112:113]
	v_fma_f64 v[10:11], v[10:11], v[29:30], v[84:85]
	s_waitcnt vmcnt(0)
	v_mul_f64 v[84:85], v[14:15], v[64:65]
	v_mul_f64 v[88:89], v[6:7], v[88:89]
	v_fma_f64 v[28:29], v[43:44], v[29:30], -v[31:32]
	v_mul_f64 v[30:31], v[0:1], v[112:113]
	v_mul_f64 v[43:44], v[2:3], v[64:65]
	v_fma_f64 v[4:5], v[4:5], v[58:59], v[47:48]
	v_add_nc_u32_e32 v112, 0x3600, v100
	v_add_nc_u32_e32 v113, 0x4300, v100
	v_add_f64 v[8:9], v[96:97], -v[8:9]
	v_add_f64 v[41:42], v[37:38], -v[41:42]
	v_fma_f64 v[6:7], v[6:7], v[86:87], v[55:56]
	v_fma_f64 v[32:33], v[33:34], v[58:59], -v[53:54]
	v_fma_f64 v[0:1], v[0:1], v[110:111], v[60:61]
	ds_read_b64 v[47:48], v128
	ds_read_b64 v[53:54], v129
	v_fma_f64 v[2:3], v[2:3], v[62:63], v[84:85]
	v_fma_f64 v[34:35], v[35:36], v[86:87], -v[88:89]
	ds_read_b64 v[55:56], v141
	ds_read_b64 v[58:59], v142
	v_fma_f64 v[12:13], v[12:13], v[110:111], -v[30:31]
	v_fma_f64 v[14:15], v[14:15], v[62:63], -v[43:44]
	v_add_f64 v[30:31], v[26:27], -v[45:46]
	v_add_f64 v[43:44], v[122:123], -v[68:69]
	;; [unrolled: 1-line block ×4, first 2 shown]
	ds_read_b64 v[60:61], v130
	ds_read_b64 v[64:65], v143
	v_add_f64 v[4:5], v[22:23], -v[4:5]
	v_add_f64 v[10:11], v[98:99], -v[10:11]
	;; [unrolled: 1-line block ×7, first 2 shown]
	v_fma_f64 v[96:97], v[96:97], 2.0, -v[8:9]
	v_add_f64 v[6:7], v[20:21], -v[6:7]
	s_waitcnt lgkmcnt(5)
	v_add_f64 v[32:33], v[47:48], -v[32:33]
	v_add_f64 v[0:1], v[18:19], -v[0:1]
	s_waitcnt lgkmcnt(3)
	v_add_f64 v[84:85], v[55:56], -v[102:103]
	v_add_f64 v[2:3], v[16:17], -v[2:3]
	v_add_f64 v[34:35], v[53:54], -v[34:35]
	v_fma_f64 v[36:37], v[37:38], 2.0, -v[41:42]
	s_waitcnt lgkmcnt(2)
	v_add_f64 v[12:13], v[58:59], -v[12:13]
	s_waitcnt lgkmcnt(0)
	v_fma_f64 v[26:27], v[26:27], 2.0, -v[30:31]
	v_fma_f64 v[86:87], v[122:123], 2.0, -v[43:44]
	v_add_f64 v[14:15], v[64:65], -v[14:15]
	v_fma_f64 v[24:25], v[24:25], 2.0, -v[62:63]
	v_fma_f64 v[90:91], v[114:115], 2.0, -v[68:69]
	;; [unrolled: 1-line block ×4, first 2 shown]
	v_add_f64 v[66:67], v[60:61], -v[66:67]
	v_add_f64 v[88:89], v[30:31], v[45:46]
	v_fma_f64 v[38:39], v[39:40], 2.0, -v[28:29]
	v_add_f64 v[92:93], v[62:63], v[70:71]
	v_add_f64 v[94:95], v[4:5], v[72:73]
	v_fma_f64 v[72:73], v[78:79], 2.0, -v[72:73]
	v_fma_f64 v[20:21], v[20:21], 2.0, -v[6:7]
	v_add_f64 v[100:101], v[6:7], v[74:75]
	v_fma_f64 v[18:19], v[18:19], 2.0, -v[0:1]
	v_add_f64 v[102:103], v[0:1], v[41:42]
	v_fma_f64 v[16:17], v[16:17], 2.0, -v[2:3]
	v_fma_f64 v[40:41], v[53:54], 2.0, -v[34:35]
	;; [unrolled: 1-line block ×4, first 2 shown]
	v_add_f64 v[28:29], v[2:3], v[28:29]
	v_fma_f64 v[45:46], v[124:125], 2.0, -v[45:46]
	v_fma_f64 v[55:56], v[55:56], 2.0, -v[84:85]
	;; [unrolled: 1-line block ×3, first 2 shown]
	v_add_f64 v[64:65], v[26:27], -v[86:87]
	v_add_f64 v[78:79], v[24:25], -v[90:91]
	v_add_f64 v[76:77], v[22:23], -v[76:77]
	v_fma_f64 v[70:71], v[157:158], 2.0, -v[70:71]
	v_fma_f64 v[60:61], v[60:61], 2.0, -v[66:67]
	;; [unrolled: 1-line block ×3, first 2 shown]
	v_add_f64 v[42:43], v[84:85], -v[43:44]
	v_add_f64 v[49:50], v[32:33], -v[49:50]
	;; [unrolled: 1-line block ×5, first 2 shown]
	v_fma_f64 v[8:9], v[30:31], 2.0, -v[88:89]
	v_add_f64 v[82:83], v[18:19], -v[96:97]
	v_add_f64 v[96:97], v[14:15], -v[10:11]
	;; [unrolled: 1-line block ×3, first 2 shown]
	v_fma_f64 v[10:11], v[62:63], 2.0, -v[92:93]
	v_fma_f64 v[4:5], v[4:5], 2.0, -v[94:95]
	v_fma_f64 v[6:7], v[6:7], 2.0, -v[100:101]
	v_fma_f64 v[0:1], v[0:1], 2.0, -v[102:103]
	v_fma_f64 v[2:3], v[2:3], 2.0, -v[28:29]
	v_add_f64 v[44:45], v[55:56], -v[45:46]
	v_add_f64 v[68:69], v[66:67], -v[68:69]
	v_fma_f64 v[26:27], v[26:27], 2.0, -v[64:65]
	v_fma_f64 v[24:25], v[24:25], 2.0, -v[78:79]
	;; [unrolled: 1-line block ×3, first 2 shown]
	v_add_f64 v[36:37], v[53:54], -v[36:37]
	v_add_f64 v[62:63], v[60:61], -v[70:71]
	;; [unrolled: 1-line block ×5, first 2 shown]
	s_barrier
	buffer_gl0_inv
	v_fma_f64 v[20:21], v[20:21], 2.0, -v[80:81]
	v_fma_f64 v[74:75], v[84:85], 2.0, -v[42:43]
	;; [unrolled: 1-line block ×8, first 2 shown]
	ds_write2_b64 v155, v[64:65], v[88:89] offset0:16 offset1:232
	ds_write2_b64 v141, v[26:27], v[8:9] offset1:216
	ds_write2_b64 v156, v[24:25], v[10:11] offset1:216
	ds_write2_b64 v159, v[78:79], v[92:93] offset0:16 offset1:232
	ds_write2_b64 v108, v[22:23], v[4:5] offset0:8 offset1:224
	;; [unrolled: 1-line block ×3, first 2 shown]
	ds_write2_b64 v112, v[20:21], v[6:7] offset1:216
	ds_write2_b64 v113, v[80:81], v[100:101] offset0:16 offset1:232
	ds_write2_b64 v160, v[18:19], v[0:1] offset1:216
	ds_write2_b64 v161, v[82:83], v[102:103] offset0:16 offset1:232
	ds_write2_b64 v162, v[16:17], v[2:3] offset0:32 offset1:248
	;; [unrolled: 1-line block ×3, first 2 shown]
	s_waitcnt lgkmcnt(0)
	s_barrier
	buffer_gl0_inv
	ds_read2_b64 v[20:23], v146 offset0:96 offset1:240
	ds_read_b64 v[124:125], v128
	ds_read_b64 v[120:121], v129
	;; [unrolled: 1-line block ×6, first 2 shown]
	ds_read2_b64 v[12:15], v144 offset0:64 offset1:208
	ds_read2_b64 v[16:19], v145 offset0:32 offset1:176
	ds_read2_b64 v[8:11], v149 offset1:144
	ds_read2_b64 v[4:7], v148 offset0:96 offset1:240
	ds_read2_b64 v[0:3], v147 offset0:64 offset1:208
	;; [unrolled: 1-line block ×3, first 2 shown]
	ds_read2_b64 v[32:35], v152 offset1:144
	ds_read2_b64 v[24:27], v150 offset0:96 offset1:240
	v_fma_f64 v[55:56], v[55:56], 2.0, -v[44:45]
	v_fma_f64 v[66:67], v[66:67], 2.0, -v[68:69]
	;; [unrolled: 1-line block ×7, first 2 shown]
	s_waitcnt lgkmcnt(0)
	s_barrier
	buffer_gl0_inv
	ds_write2_b64 v155, v[44:45], v[42:43] offset0:16 offset1:232
	ds_write2_b64 v141, v[55:56], v[74:75] offset1:216
	ds_write2_b64 v156, v[60:61], v[66:67] offset1:216
	ds_write2_b64 v159, v[62:63], v[68:69] offset0:16 offset1:232
	ds_write2_b64 v108, v[46:47], v[84:85] offset0:8 offset1:224
	;; [unrolled: 1-line block ×3, first 2 shown]
	ds_write2_b64 v112, v[40:41], v[98:99] offset1:216
	ds_write2_b64 v113, v[72:73], v[51:52] offset0:16 offset1:232
	ds_write2_b64 v160, v[53:54], v[104:105] offset1:216
	ds_write2_b64 v161, v[36:37], v[90:91] offset0:16 offset1:232
	ds_write2_b64 v162, v[58:59], v[106:107] offset0:32 offset1:248
	;; [unrolled: 1-line block ×3, first 2 shown]
	s_waitcnt lgkmcnt(0)
	s_barrier
	buffer_gl0_inv
	s_and_saveexec_b32 s0, vcc_lo
	s_cbranch_execz .LBB0_15
; %bb.14:
	v_mul_i32_i24_e32 v56, 3, v137
	v_mul_i32_i24_e32 v176, 0xffffffd8, v135
	v_lshrrev_b32_e32 v177, 5, v132
	v_mul_i32_i24_e32 v137, 0xffffffd8, v133
	v_mul_i32_i24_e32 v178, 0xffffffd8, v134
	v_lshlrev_b64 v[36:37], 4, v[56:57]
	v_mul_i32_i24_e32 v56, 3, v136
	v_add_nc_u32_e32 v184, v140, v176
	v_mul_lo_u32 v179, s5, v118
	v_mul_lo_u32 v180, s4, v119
	v_mad_u64_u32 v[118:119], null, s4, v118, 0
	v_add_co_u32 v38, vcc_lo, s12, v36
	v_add_co_ci_u32_e32 v39, vcc_lo, s13, v37, vcc_lo
	v_lshlrev_b64 v[36:37], 4, v[56:57]
	v_add_co_u32 v48, vcc_lo, 0x35a0, v38
	v_add_co_ci_u32_e32 v49, vcc_lo, 0, v39, vcc_lo
	v_mul_i32_i24_e32 v56, 3, v135
	v_add_co_u32 v50, vcc_lo, s12, v36
	v_add_co_ci_u32_e32 v51, vcc_lo, s13, v37, vcc_lo
	global_load_dwordx4 v[52:55], v[48:49], off offset:16
	v_add_co_u32 v58, vcc_lo, 0x35a0, v50
	v_add_co_ci_u32_e32 v59, vcc_lo, 0, v51, vcc_lo
	v_add_co_u32 v36, vcc_lo, 0x3000, v38
	v_add_co_ci_u32_e32 v37, vcc_lo, 0, v39, vcc_lo
	global_load_dwordx4 v[44:47], v[58:59], off offset:16
	v_lshlrev_b64 v[60:61], 4, v[56:57]
	v_mul_i32_i24_e32 v56, 3, v134
	global_load_dwordx4 v[40:43], v[36:37], off offset:1440
	v_add_co_u32 v36, vcc_lo, 0x3000, v50
	v_add_co_ci_u32_e32 v37, vcc_lo, 0, v51, vcc_lo
	s_clause 0x2
	global_load_dwordx4 v[36:39], v[36:37], off offset:1440
	global_load_dwordx4 v[48:51], v[48:49], off offset:32
	global_load_dwordx4 v[88:91], v[58:59], off offset:32
	v_add_co_u32 v58, vcc_lo, 0x3000, v153
	v_add_co_ci_u32_e32 v59, vcc_lo, 0, v154, vcc_lo
	v_add_nc_u32_e32 v181, 0x90, v132
	v_add_nc_u32_e32 v182, 0x120, v132
	v_add3_u32 v119, v119, v180, v179
	global_load_dwordx4 v[92:95], v[58:59], off offset:1440
	v_lshlrev_b64 v[58:59], 4, v[56:57]
	v_mul_i32_i24_e32 v56, 3, v133
	v_lshrrev_b32_e32 v140, 5, v181
	v_add_nc_u32_e32 v139, v139, v178
	v_add_nc_u32_e32 v178, v138, v137
	;; [unrolled: 1-line block ×3, first 2 shown]
	v_lshlrev_b64 v[56:57], 4, v[56:57]
	v_mul_hi_u32 v179, 0x97b425f, v140
	v_lshrrev_b32_e32 v185, 5, v183
	v_add_co_u32 v62, vcc_lo, s12, v56
	v_add_co_ci_u32_e32 v63, vcc_lo, s13, v57, vcc_lo
	v_mul_hi_u32 v185, 0x97b425f, v185
	v_add_co_u32 v56, vcc_lo, 0x3000, v62
	v_add_co_ci_u32_e32 v57, vcc_lo, 0, v63, vcc_lo
	global_load_dwordx4 v[84:87], v[56:57], off offset:1440
	v_add_co_u32 v56, vcc_lo, 0x35a0, v153
	v_add_co_ci_u32_e32 v57, vcc_lo, 0, v154, vcc_lo
	v_add_co_u32 v62, vcc_lo, 0x35a0, v62
	v_add_co_ci_u32_e32 v63, vcc_lo, 0, v63, vcc_lo
	s_clause 0x1
	global_load_dwordx4 v[80:83], v[56:57], off offset:32
	global_load_dwordx4 v[72:75], v[56:57], off offset:16
	v_add_co_u32 v98, vcc_lo, s12, v60
	s_clause 0x1
	global_load_dwordx4 v[76:79], v[62:63], off offset:32
	global_load_dwordx4 v[68:71], v[62:63], off offset:16
	v_add_co_ci_u32_e32 v99, vcc_lo, s13, v61, vcc_lo
	v_add_co_u32 v58, vcc_lo, s12, v58
	v_add_co_ci_u32_e32 v59, vcc_lo, s13, v59, vcc_lo
	v_add_co_u32 v56, vcc_lo, 0x3000, v98
	;; [unrolled: 2-line block ×4, first 2 shown]
	v_add_co_ci_u32_e32 v97, vcc_lo, 0, v59, vcc_lo
	s_clause 0x3
	global_load_dwordx4 v[56:59], v[56:57], off offset:1440
	global_load_dwordx4 v[64:67], v[60:61], off offset:1440
	;; [unrolled: 1-line block ×4, first 2 shown]
	v_add_co_u32 v100, vcc_lo, 0x35a0, v98
	v_add_co_ci_u32_e32 v101, vcc_lo, 0, v99, vcc_lo
	s_clause 0x1
	global_load_dwordx4 v[96:99], v[100:101], off offset:16
	global_load_dwordx4 v[100:103], v[100:101], off offset:32
	ds_read2_b64 v[152:155], v152 offset1:144
	ds_read2_b64 v[156:159], v151 offset0:32 offset1:176
	ds_read2_b64 v[160:163], v150 offset0:96 offset1:240
	ds_read2_b64 v[108:111], v149 offset1:144
	ds_read2_b64 v[112:115], v148 offset0:96 offset1:240
	ds_read2_b64 v[133:136], v146 offset0:96 offset1:240
	;; [unrolled: 1-line block ×5, first 2 shown]
	v_lshlrev_b64 v[144:145], 4, v[116:117]
	v_mul_hi_u32 v117, 0x97b425f, v177
	v_add_nc_u32_e32 v116, 0x240, v132
	v_lshrrev_b32_e32 v186, 5, v116
	v_mul_hi_u32 v186, 0x97b425f, v186
	s_waitcnt vmcnt(17)
	v_mul_f64 v[150:151], v[34:35], v[54:55]
	s_waitcnt lgkmcnt(8)
	v_mul_f64 v[172:173], v[154:155], v[54:55]
	ds_read_b64 v[174:175], v143
	ds_read_b64 v[54:55], v142
	;; [unrolled: 1-line block ×3, first 2 shown]
	v_lshrrev_b32_e32 v143, 5, v182
	ds_read_b64 v[137:138], v139
	v_mul_hi_u32 v180, 0x97b425f, v143
	s_waitcnt vmcnt(16)
	v_mul_f64 v[176:177], v[32:33], v[46:47]
	v_mul_f64 v[46:47], v[152:153], v[46:47]
	v_mul_u32_u24_e32 v143, 0x360, v117
	v_lshlrev_b64 v[117:118], 4, v[118:119]
	v_sub_nc_u32_e32 v119, v132, v143
	v_mul_u32_u24_e32 v143, 0x360, v179
	v_fma_f64 v[139:140], v[52:53], v[154:155], -v[150:151]
	v_add_co_u32 v155, vcc_lo, s10, v117
	v_fma_f64 v[34:35], v[34:35], v[52:53], v[172:173]
	v_add_co_ci_u32_e32 v172, vcc_lo, s11, v118, vcc_lo
	v_mul_u32_u24_e32 v154, 0x360, v180
	v_mad_u64_u32 v[117:118], null, s2, v119, 0
	v_fma_f64 v[150:151], v[44:45], v[152:153], -v[176:177]
	s_waitcnt vmcnt(15) lgkmcnt(11)
	v_mul_f64 v[152:153], v[42:43], v[158:159]
	v_mul_f64 v[42:43], v[30:31], v[42:43]
	v_fma_f64 v[44:45], v[32:33], v[44:45], v[46:47]
	s_waitcnt vmcnt(14)
	v_mul_f64 v[46:47], v[38:39], v[156:157]
	v_sub_nc_u32_e32 v176, v181, v143
	v_mul_f64 v[38:39], v[28:29], v[38:39]
	v_add_co_u32 v32, vcc_lo, v155, v144
	s_waitcnt vmcnt(13) lgkmcnt(10)
	v_mul_f64 v[143:144], v[50:51], v[162:163]
	v_mul_f64 v[50:51], v[26:27], v[50:51]
	v_add_nc_u32_e32 v177, 0x360, v119
	v_add_nc_u32_e32 v181, 0x6c0, v119
	ds_read_b64 v[52:53], v178
	v_sub_nc_u32_e32 v178, v182, v154
	s_waitcnt vmcnt(12)
	v_mul_f64 v[154:155], v[90:91], v[160:161]
	v_mul_f64 v[90:91], v[24:25], v[90:91]
	v_mul_u32_u24_e32 v173, 0x360, v185
	v_add_co_ci_u32_e32 v33, vcc_lo, v172, v145, vcc_lo
	v_mad_u32_u24 v145, 0xd80, v179, v176
	v_add_nc_u32_e32 v182, 0xa20, v119
	v_sub_nc_u32_e32 v173, v183, v173
	v_fma_f64 v[30:31], v[30:31], v[40:41], v[152:153]
	v_fma_f64 v[40:41], v[40:41], v[158:159], -v[42:43]
	v_mad_u64_u32 v[42:43], null, s2, v177, 0
	v_mad_u64_u32 v[152:153], null, s2, v181, 0
	v_fma_f64 v[28:29], v[28:29], v[36:37], v[46:47]
	v_fma_f64 v[36:37], v[36:37], v[156:157], -v[38:39]
	v_mov_b32_e32 v38, v118
	v_fma_f64 v[26:27], v[26:27], v[48:49], v[143:144]
	v_fma_f64 v[48:49], v[48:49], v[162:163], -v[50:51]
	v_mad_u64_u32 v[156:157], null, s2, v145, 0
	v_mad_u64_u32 v[38:39], null, s3, v119, v[38:39]
	v_mov_b32_e32 v39, v43
	v_mov_b32_e32 v43, v153
	v_mad_u32_u24 v185, 0xd80, v185, v173
	v_mad_u64_u32 v[46:47], null, s2, v182, 0
	v_mad_u32_u24 v180, 0xd80, v180, v178
	v_mad_u64_u32 v[172:173], null, s3, v181, v[43:44]
	v_add_nc_u32_e32 v179, 0x360, v145
	v_add_nc_u32_e32 v183, 0x6c0, v145
	v_mad_u64_u32 v[162:163], null, s3, v177, v[39:40]
	v_mov_b32_e32 v39, v157
	v_mad_u64_u32 v[158:159], null, s2, v180, 0
	v_fma_f64 v[24:25], v[24:25], v[88:89], v[154:155]
	v_fma_f64 v[50:51], v[88:89], v[160:161], -v[90:91]
	v_mad_u64_u32 v[88:89], null, s2, v179, 0
	v_mov_b32_e32 v153, v172
	s_waitcnt vmcnt(11) lgkmcnt(8)
	v_mul_f64 v[172:173], v[94:95], v[133:134]
	v_mul_f64 v[94:95], v[20:21], v[94:95]
	v_add_nc_u32_e32 v187, 0xa20, v145
	v_mad_u64_u32 v[90:91], null, s2, v183, 0
	v_mad_u64_u32 v[176:177], null, s3, v182, v[47:48]
	v_add_nc_u32_e32 v188, 0x360, v180
	v_mad_u64_u32 v[177:178], null, s3, v145, v[39:40]
	v_mad_u64_u32 v[143:144], null, s2, v185, 0
	v_add_nc_u32_e32 v119, 0x6c0, v180
	v_mad_u64_u32 v[154:155], null, s2, v187, 0
	v_mov_b32_e32 v118, v38
	v_mov_b32_e32 v38, v159
	;; [unrolled: 1-line block ×3, first 2 shown]
	v_mad_u64_u32 v[160:161], null, s2, v188, 0
	v_mov_b32_e32 v89, v91
	v_mov_b32_e32 v47, v176
	;; [unrolled: 1-line block ×3, first 2 shown]
	v_mad_u64_u32 v[176:177], null, s2, v119, 0
	v_mov_b32_e32 v43, v162
	v_mad_u64_u32 v[162:163], null, s3, v180, v[38:39]
	v_mad_u64_u32 v[38:39], null, s3, v179, v[39:40]
	v_mov_b32_e32 v39, v144
	v_mad_u64_u32 v[178:179], null, s3, v183, v[89:90]
	v_mov_b32_e32 v89, v155
	v_mov_b32_e32 v91, v161
	v_mad_u64_u32 v[144:145], null, s3, v185, v[39:40]
	v_add_nc_u32_e32 v145, 0xa20, v180
	v_mov_b32_e32 v39, v177
	v_mov_b32_e32 v159, v162
	v_mad_u64_u32 v[161:162], null, s3, v187, v[89:90]
	v_mad_u64_u32 v[162:163], null, s3, v188, v[91:92]
	v_fma_f64 v[20:21], v[20:21], v[92:93], v[172:173]
	v_fma_f64 v[92:93], v[92:93], v[133:134], -v[94:95]
	s_waitcnt vmcnt(10)
	v_mul_f64 v[94:95], v[86:87], v[135:136]
	v_add_nc_u32_e32 v181, 0x360, v185
	v_mov_b32_e32 v89, v38
	v_mad_u64_u32 v[133:134], null, s2, v145, 0
	v_mad_u64_u32 v[38:39], null, s3, v119, v[39:40]
	v_add_nc_u32_e32 v119, 0x6c0, v185
	v_mad_u64_u32 v[172:173], null, s2, v181, 0
	v_mov_b32_e32 v155, v161
	v_mov_b32_e32 v161, v162
	v_mad_u64_u32 v[162:163], null, s2, v119, 0
	v_mov_b32_e32 v39, v134
	v_mov_b32_e32 v91, v178
	;; [unrolled: 1-line block ×4, first 2 shown]
	v_lshlrev_b64 v[117:118], 4, v[117:118]
	v_mad_u64_u32 v[178:179], null, s3, v145, v[39:40]
	v_mov_b32_e32 v39, v163
	v_fma_f64 v[94:95], v[22:23], v[84:85], v[94:95]
	v_mul_f64 v[22:23], v[22:23], v[86:87]
	v_add_co_u32 v117, vcc_lo, v32, v117
	v_mad_u64_u32 v[181:182], null, s3, v181, v[38:39]
	v_mad_u64_u32 v[182:183], null, s3, v119, v[39:40]
	v_lshlrev_b64 v[38:39], 4, v[42:43]
	v_lshlrev_b64 v[42:43], 4, v[152:153]
	v_add_co_ci_u32_e32 v118, vcc_lo, v33, v118, vcc_lo
	v_lshlrev_b64 v[86:87], 4, v[156:157]
	v_lshlrev_b64 v[152:153], 4, v[158:159]
	v_add_co_u32 v156, vcc_lo, v32, v38
	v_add_co_ci_u32_e32 v157, vcc_lo, v33, v39, vcc_lo
	v_add_co_u32 v158, vcc_lo, v32, v42
	v_add_co_ci_u32_e32 v159, vcc_lo, v33, v43, vcc_lo
	s_waitcnt vmcnt(9) lgkmcnt(5)
	v_mul_f64 v[38:39], v[82:83], v[168:169]
	v_mul_f64 v[42:43], v[16:17], v[82:83]
	v_lshlrev_b64 v[46:47], 4, v[46:47]
	v_fma_f64 v[22:23], v[84:85], v[135:136], -v[22:23]
	v_lshlrev_b64 v[82:83], 4, v[90:91]
	v_lshlrev_b64 v[90:91], 4, v[176:177]
	;; [unrolled: 1-line block ×3, first 2 shown]
	s_waitcnt vmcnt(7)
	v_mul_f64 v[154:155], v[78:79], v[170:171]
	v_add_co_u32 v135, vcc_lo, v32, v46
	v_add_co_ci_u32_e32 v136, vcc_lo, v33, v47, vcc_lo
	v_lshlrev_b64 v[46:47], 4, v[88:89]
	v_lshlrev_b64 v[88:89], 4, v[160:161]
	v_add_co_u32 v160, vcc_lo, v32, v86
	v_add_co_ci_u32_e32 v161, vcc_lo, v33, v87, vcc_lo
	v_add_co_u32 v152, vcc_lo, v32, v152
	v_add_co_ci_u32_e32 v153, vcc_lo, v33, v153, vcc_lo
	;; [unrolled: 2-line block ×3, first 2 shown]
	v_mul_f64 v[46:47], v[18:19], v[78:79]
	v_fma_f64 v[16:17], v[16:17], v[80:81], v[38:39]
	v_fma_f64 v[38:39], v[80:81], v[168:169], -v[42:43]
	v_mul_f64 v[42:43], v[12:13], v[74:75]
	v_mul_f64 v[74:75], v[164:165], v[74:75]
	s_waitcnt vmcnt(6)
	v_mul_f64 v[78:79], v[14:15], v[70:71]
	v_mul_f64 v[70:71], v[166:167], v[70:71]
	v_mov_b32_e32 v134, v178
	v_add_co_u32 v168, vcc_lo, v32, v82
	v_add_co_ci_u32_e32 v169, vcc_lo, v33, v83, vcc_lo
	v_lshlrev_b64 v[80:81], 4, v[133:134]
	v_add_co_u32 v133, vcc_lo, v32, v84
	v_fma_f64 v[18:19], v[18:19], v[76:77], v[154:155]
	v_add_co_ci_u32_e32 v134, vcc_lo, v33, v85, vcc_lo
	s_waitcnt vmcnt(3)
	v_mul_f64 v[84:85], v[4:5], v[62:63]
	s_waitcnt vmcnt(2)
	v_mul_f64 v[86:87], v[0:1], v[106:107]
	v_mul_f64 v[62:63], v[112:113], v[62:63]
	v_add_co_u32 v154, vcc_lo, v32, v88
	v_fma_f64 v[46:47], v[76:77], v[170:171], -v[46:47]
	v_mul_f64 v[76:77], v[66:67], v[108:109]
	v_mul_f64 v[66:67], v[8:9], v[66:67]
	v_fma_f64 v[42:43], v[72:73], v[164:165], -v[42:43]
	v_fma_f64 v[12:13], v[12:13], v[72:73], v[74:75]
	v_mul_f64 v[72:73], v[106:107], v[146:147]
	v_add_co_ci_u32_e32 v155, vcc_lo, v33, v89, vcc_lo
	v_mul_f64 v[82:83], v[58:59], v[110:111]
	v_fma_f64 v[74:75], v[68:69], v[166:167], -v[78:79]
	v_mul_f64 v[58:59], v[10:11], v[58:59]
	s_waitcnt vmcnt(1)
	v_mul_f64 v[78:79], v[6:7], v[98:99]
	v_fma_f64 v[14:15], v[14:15], v[68:69], v[70:71]
	v_mul_f64 v[68:69], v[114:115], v[98:99]
	s_waitcnt vmcnt(0)
	v_mul_f64 v[70:71], v[102:103], v[148:149]
	v_mul_f64 v[88:89], v[2:3], v[102:103]
	v_add_f64 v[38:39], v[92:93], -v[38:39]
	v_add_f64 v[16:17], v[20:21], -v[16:17]
	ds_read_b64 v[179:180], v184
	v_fma_f64 v[4:5], v[4:5], v[60:61], v[62:63]
	v_add_co_u32 v98, vcc_lo, v32, v90
	v_add_co_ci_u32_e32 v99, vcc_lo, v33, v91, vcc_lo
	v_fma_f64 v[8:9], v[8:9], v[64:65], v[76:77]
	v_fma_f64 v[64:65], v[64:65], v[108:109], -v[66:67]
	v_fma_f64 v[66:67], v[60:61], v[112:113], -v[84:85]
	;; [unrolled: 1-line block ×3, first 2 shown]
	v_fma_f64 v[0:1], v[0:1], v[104:105], v[72:73]
	s_waitcnt lgkmcnt(3)
	v_add_f64 v[62:63], v[141:142], -v[42:43]
	v_fma_f64 v[10:11], v[10:11], v[56:57], v[82:83]
	v_add_f64 v[82:83], v[54:55], -v[150:151]
	v_fma_f64 v[56:57], v[56:57], v[110:111], -v[58:59]
	v_fma_f64 v[58:59], v[96:97], v[114:115], -v[78:79]
	v_add_f64 v[72:73], v[126:127], -v[14:15]
	v_fma_f64 v[6:7], v[6:7], v[96:97], v[68:69]
	v_fma_f64 v[2:3], v[2:3], v[100:101], v[70:71]
	v_fma_f64 v[60:61], v[100:101], v[148:149], -v[88:89]
	v_add_f64 v[68:69], v[128:129], -v[12:13]
	s_waitcnt lgkmcnt(1)
	v_add_f64 v[70:71], v[52:53], -v[74:75]
	v_add_f64 v[12:13], v[22:23], -v[46:47]
	;; [unrolled: 1-line block ×6, first 2 shown]
	v_fma_f64 v[4:5], v[92:93], 2.0, -v[38:39]
	v_fma_f64 v[18:19], v[20:21], 2.0, -v[16:17]
	v_add_co_u32 v102, vcc_lo, v32, v80
	v_add_f64 v[66:67], v[137:138], -v[66:67]
	v_add_f64 v[42:43], v[64:65], -v[76:77]
	;; [unrolled: 1-line block ×3, first 2 shown]
	v_add_co_ci_u32_e32 v103, vcc_lo, v33, v81, vcc_lo
	v_add_f64 v[80:81], v[130:131], -v[34:35]
	s_waitcnt lgkmcnt(0)
	v_add_f64 v[86:87], v[179:180], -v[58:59]
	v_add_f64 v[26:27], v[30:31], -v[26:27]
	v_add_f64 v[88:89], v[120:121], -v[6:7]
	v_add_f64 v[50:51], v[10:11], -v[2:3]
	v_add_f64 v[58:59], v[56:57], -v[60:61]
	v_fma_f64 v[60:61], v[141:142], 2.0, -v[62:63]
	v_fma_f64 v[76:77], v[128:129], 2.0, -v[68:69]
	;; [unrolled: 1-line block ×6, first 2 shown]
	v_add_f64 v[78:79], v[174:175], -v[139:140]
	v_add_f64 v[34:35], v[40:41], -v[48:49]
	;; [unrolled: 1-line block ×3, first 2 shown]
	v_fma_f64 v[104:105], v[124:125], 2.0, -v[74:75]
	v_fma_f64 v[106:107], v[54:55], 2.0, -v[82:83]
	;; [unrolled: 1-line block ×6, first 2 shown]
	v_add_f64 v[6:7], v[62:63], -v[16:17]
	v_fma_f64 v[92:93], v[130:131], 2.0, -v[80:81]
	v_fma_f64 v[112:113], v[179:180], 2.0, -v[86:87]
	v_fma_f64 v[64:65], v[30:31], 2.0, -v[26:27]
	v_fma_f64 v[114:115], v[120:121], 2.0, -v[88:89]
	v_fma_f64 v[119:120], v[10:11], 2.0, -v[50:51]
	v_fma_f64 v[56:57], v[56:57], 2.0, -v[58:59]
	v_add_f64 v[10:11], v[60:61], -v[4:5]
	v_add_f64 v[8:9], v[76:77], -v[18:19]
	v_add_f64 v[4:5], v[68:69], v[38:39]
	v_add_f64 v[18:19], v[96:97], -v[20:21]
	v_add_f64 v[14:15], v[70:71], -v[14:15]
	;; [unrolled: 1-line block ×3, first 2 shown]
	v_add_f64 v[12:13], v[72:73], v[12:13]
	v_add_f64 v[2:3], v[78:79], -v[26:27]
	v_add_f64 v[22:23], v[66:67], -v[46:47]
	v_add_f64 v[20:21], v[74:75], v[42:43]
	v_fma_f64 v[110:111], v[28:29], 2.0, -v[48:49]
	v_add_f64 v[30:31], v[82:83], -v[48:49]
	v_add_f64 v[26:27], v[94:95], -v[24:25]
	;; [unrolled: 1-line block ×3, first 2 shown]
	v_add_f64 v[28:29], v[84:85], v[44:45]
	v_add_f64 v[44:45], v[106:107], -v[54:55]
	v_add_f64 v[36:37], v[86:87], -v[50:51]
	v_fma_f64 v[52:53], v[62:63], 2.0, -v[6:7]
	v_add_f64 v[38:39], v[92:93], -v[64:65]
	v_add_f64 v[0:1], v[80:81], v[34:35]
	v_fma_f64 v[40:41], v[40:41], 2.0, -v[34:35]
	v_add_f64 v[48:49], v[112:113], -v[56:57]
	v_fma_f64 v[56:57], v[60:61], 2.0, -v[10:11]
	v_fma_f64 v[54:55], v[76:77], 2.0, -v[8:9]
	;; [unrolled: 1-line block ×4, first 2 shown]
	v_add_f64 v[34:35], v[88:89], v[58:59]
	v_fma_f64 v[62:63], v[100:101], 2.0, -v[16:17]
	v_fma_f64 v[60:61], v[70:71], 2.0, -v[14:15]
	;; [unrolled: 1-line block ×5, first 2 shown]
	v_add_f64 v[46:47], v[114:115], -v[119:120]
	v_mul_u32_u24_e32 v145, 0x360, v186
	v_fma_f64 v[72:73], v[94:95], 2.0, -v[26:27]
	v_fma_f64 v[70:71], v[104:105], 2.0, -v[24:25]
	;; [unrolled: 1-line block ×4, first 2 shown]
	global_store_dwordx4 v[117:118], v[54:57], off
	global_store_dwordx4 v[156:157], v[50:53], off
	;; [unrolled: 1-line block ×12, first 2 shown]
	v_sub_nc_u32_e32 v8, v116, v145
	v_add_nc_u32_e32 v14, 0xa20, v185
	v_mov_b32_e32 v173, v181
	v_fma_f64 v[96:97], v[112:113], 2.0, -v[48:49]
	v_fma_f64 v[94:95], v[114:115], 2.0, -v[46:47]
	v_mad_u32_u24 v20, 0xd80, v186, v8
	v_mad_u64_u32 v[6:7], null, s2, v14, 0
	v_lshlrev_b64 v[8:9], 4, v[172:173]
	v_fma_f64 v[76:77], v[78:79], 2.0, -v[2:3]
	v_add_nc_u32_e32 v18, 0x360, v20
	v_fma_f64 v[74:75], v[80:81], 2.0, -v[0:1]
	v_fma_f64 v[80:81], v[82:83], 2.0, -v[30:31]
	;; [unrolled: 1-line block ×3, first 2 shown]
	v_mad_u64_u32 v[14:15], null, s3, v14, v[7:8]
	v_fma_f64 v[84:85], v[86:87], 2.0, -v[36:37]
	v_fma_f64 v[82:83], v[88:89], 2.0, -v[34:35]
	v_mad_u64_u32 v[15:16], null, s2, v18, 0
	v_lshlrev_b64 v[4:5], 4, v[143:144]
	v_add_f64 v[40:41], v[90:91], -v[40:41]
	v_add_f64 v[42:43], v[108:109], -v[110:111]
	v_mov_b32_e32 v163, v182
	v_mad_u64_u32 v[12:13], null, s2, v20, 0
	v_mov_b32_e32 v7, v14
	v_mov_b32_e32 v14, v16
	v_add_co_u32 v4, vcc_lo, v32, v4
	v_lshlrev_b64 v[10:11], 4, v[162:163]
	v_add_co_ci_u32_e32 v5, vcc_lo, v33, v5, vcc_lo
	v_add_co_u32 v8, vcc_lo, v32, v8
	v_mad_u64_u32 v[16:17], null, s3, v20, v[13:14]
	v_add_nc_u32_e32 v21, 0x6c0, v20
	v_add_co_ci_u32_e32 v9, vcc_lo, v33, v9, vcc_lo
	v_add_co_u32 v10, vcc_lo, v32, v10
	v_mad_u64_u32 v[17:18], null, s3, v18, v[14:15]
	v_add_nc_u32_e32 v14, 0x2d0, v132
	v_add_co_ci_u32_e32 v11, vcc_lo, v33, v11, vcc_lo
	v_mad_u64_u32 v[18:19], null, s2, v21, 0
	global_store_dwordx4 v[4:5], v[94:97], off
	global_store_dwordx4 v[8:9], v[82:85], off
	;; [unrolled: 1-line block ×3, first 2 shown]
	v_lshrrev_b32_e32 v8, 5, v14
	v_mov_b32_e32 v13, v16
	v_lshlrev_b64 v[4:5], 4, v[6:7]
	v_mov_b32_e32 v16, v17
	v_fma_f64 v[88:89], v[90:91], 2.0, -v[40:41]
	v_mul_hi_u32 v17, 0x97b425f, v8
	v_lshlrev_b64 v[7:8], 4, v[12:13]
	v_fma_f64 v[86:87], v[92:93], 2.0, -v[38:39]
	v_fma_f64 v[92:93], v[106:107], 2.0, -v[44:45]
	;; [unrolled: 1-line block ×3, first 2 shown]
	v_mov_b32_e32 v6, v19
	v_add_co_u32 v4, vcc_lo, v32, v4
	v_lshlrev_b64 v[9:10], 4, v[15:16]
	v_add_co_ci_u32_e32 v5, vcc_lo, v33, v5, vcc_lo
	v_mad_u64_u32 v[11:12], null, s3, v21, v[6:7]
	v_mul_u32_u24_e32 v12, 0x360, v17
	v_add_co_u32 v6, vcc_lo, v32, v7
	v_add_nc_u32_e32 v15, 0xa20, v20
	v_add_co_ci_u32_e32 v7, vcc_lo, v33, v8, vcc_lo
	v_add_co_u32 v8, vcc_lo, v32, v9
	v_sub_nc_u32_e32 v12, v14, v12
	v_add_co_ci_u32_e32 v9, vcc_lo, v33, v10, vcc_lo
	v_mov_b32_e32 v19, v11
	v_mad_u64_u32 v[10:11], null, s2, v15, 0
	v_mad_u32_u24 v17, 0xd80, v17, v12
	global_store_dwordx4 v[4:5], v[34:37], off
	global_store_dwordx4 v[6:7], v[90:93], off
	;; [unrolled: 1-line block ×3, first 2 shown]
	v_lshlrev_b64 v[4:5], 4, v[18:19]
	v_add_nc_u32_e32 v18, 0x360, v17
	v_mov_b32_e32 v8, v11
	v_mad_u64_u32 v[6:7], null, s2, v17, 0
	v_add_nc_u32_e32 v19, 0x6c0, v17
	v_mad_u64_u32 v[12:13], null, s2, v18, 0
	v_mad_u64_u32 v[8:9], null, s3, v15, v[8:9]
	v_add_co_u32 v4, vcc_lo, v32, v4
	v_add_nc_u32_e32 v20, 0xa20, v17
	v_add_co_ci_u32_e32 v5, vcc_lo, v33, v5, vcc_lo
	v_mad_u64_u32 v[14:15], null, s3, v17, v[7:8]
	v_mad_u64_u32 v[15:16], null, s2, v19, 0
	v_mov_b32_e32 v7, v13
	v_mov_b32_e32 v11, v8
	global_store_dwordx4 v[4:5], v[42:45], off
	v_mad_u64_u32 v[17:18], null, s3, v18, v[7:8]
	v_mad_u64_u32 v[8:9], null, s2, v20, 0
	v_mov_b32_e32 v4, v16
	v_mov_b32_e32 v7, v14
	v_lshlrev_b64 v[10:11], 4, v[10:11]
	v_mov_b32_e32 v13, v17
	v_mad_u64_u32 v[4:5], null, s3, v19, v[4:5]
	v_lshlrev_b64 v[6:7], 4, v[6:7]
	v_mov_b32_e32 v5, v9
	v_add_co_u32 v10, vcc_lo, v32, v10
	v_add_co_ci_u32_e32 v11, vcc_lo, v33, v11, vcc_lo
	v_mad_u64_u32 v[17:18], null, s3, v20, v[5:6]
	v_mov_b32_e32 v16, v4
	v_lshlrev_b64 v[12:13], 4, v[12:13]
	v_add_co_u32 v4, vcc_lo, v32, v6
	v_add_co_ci_u32_e32 v5, vcc_lo, v33, v7, vcc_lo
	v_mov_b32_e32 v9, v17
	v_lshlrev_b64 v[6:7], 4, v[15:16]
	v_add_co_u32 v12, vcc_lo, v32, v12
	v_add_co_ci_u32_e32 v13, vcc_lo, v33, v13, vcc_lo
	v_lshlrev_b64 v[8:9], 4, v[8:9]
	v_add_co_u32 v6, vcc_lo, v32, v6
	v_add_co_ci_u32_e32 v7, vcc_lo, v33, v7, vcc_lo
	v_add_co_u32 v8, vcc_lo, v32, v8
	v_add_co_ci_u32_e32 v9, vcc_lo, v33, v9, vcc_lo
	global_store_dwordx4 v[10:11], v[28:31], off
	global_store_dwordx4 v[4:5], v[86:89], off
	;; [unrolled: 1-line block ×5, first 2 shown]
.LBB0_15:
	s_endpgm
	.section	.rodata,"a",@progbits
	.p2align	6, 0x0
	.amdhsa_kernel fft_rtc_back_len3456_factors_6_6_6_4_4_wgs_144_tpt_144_halfLds_dp_op_CI_CI_sbrr_dirReg
		.amdhsa_group_segment_fixed_size 0
		.amdhsa_private_segment_fixed_size 0
		.amdhsa_kernarg_size 104
		.amdhsa_user_sgpr_count 6
		.amdhsa_user_sgpr_private_segment_buffer 1
		.amdhsa_user_sgpr_dispatch_ptr 0
		.amdhsa_user_sgpr_queue_ptr 0
		.amdhsa_user_sgpr_kernarg_segment_ptr 1
		.amdhsa_user_sgpr_dispatch_id 0
		.amdhsa_user_sgpr_flat_scratch_init 0
		.amdhsa_user_sgpr_private_segment_size 0
		.amdhsa_wavefront_size32 1
		.amdhsa_uses_dynamic_stack 0
		.amdhsa_system_sgpr_private_segment_wavefront_offset 0
		.amdhsa_system_sgpr_workgroup_id_x 1
		.amdhsa_system_sgpr_workgroup_id_y 0
		.amdhsa_system_sgpr_workgroup_id_z 0
		.amdhsa_system_sgpr_workgroup_info 0
		.amdhsa_system_vgpr_workitem_id 0
		.amdhsa_next_free_vgpr 189
		.amdhsa_next_free_sgpr 31
		.amdhsa_reserve_vcc 1
		.amdhsa_reserve_flat_scratch 0
		.amdhsa_float_round_mode_32 0
		.amdhsa_float_round_mode_16_64 0
		.amdhsa_float_denorm_mode_32 3
		.amdhsa_float_denorm_mode_16_64 3
		.amdhsa_dx10_clamp 1
		.amdhsa_ieee_mode 1
		.amdhsa_fp16_overflow 0
		.amdhsa_workgroup_processor_mode 1
		.amdhsa_memory_ordered 1
		.amdhsa_forward_progress 0
		.amdhsa_shared_vgpr_count 0
		.amdhsa_exception_fp_ieee_invalid_op 0
		.amdhsa_exception_fp_denorm_src 0
		.amdhsa_exception_fp_ieee_div_zero 0
		.amdhsa_exception_fp_ieee_overflow 0
		.amdhsa_exception_fp_ieee_underflow 0
		.amdhsa_exception_fp_ieee_inexact 0
		.amdhsa_exception_int_div_zero 0
	.end_amdhsa_kernel
	.text
.Lfunc_end0:
	.size	fft_rtc_back_len3456_factors_6_6_6_4_4_wgs_144_tpt_144_halfLds_dp_op_CI_CI_sbrr_dirReg, .Lfunc_end0-fft_rtc_back_len3456_factors_6_6_6_4_4_wgs_144_tpt_144_halfLds_dp_op_CI_CI_sbrr_dirReg
                                        ; -- End function
	.section	.AMDGPU.csdata,"",@progbits
; Kernel info:
; codeLenInByte = 18060
; NumSgprs: 33
; NumVgprs: 189
; ScratchSize: 0
; MemoryBound: 1
; FloatMode: 240
; IeeeMode: 1
; LDSByteSize: 0 bytes/workgroup (compile time only)
; SGPRBlocks: 4
; VGPRBlocks: 23
; NumSGPRsForWavesPerEU: 33
; NumVGPRsForWavesPerEU: 189
; Occupancy: 5
; WaveLimiterHint : 1
; COMPUTE_PGM_RSRC2:SCRATCH_EN: 0
; COMPUTE_PGM_RSRC2:USER_SGPR: 6
; COMPUTE_PGM_RSRC2:TRAP_HANDLER: 0
; COMPUTE_PGM_RSRC2:TGID_X_EN: 1
; COMPUTE_PGM_RSRC2:TGID_Y_EN: 0
; COMPUTE_PGM_RSRC2:TGID_Z_EN: 0
; COMPUTE_PGM_RSRC2:TIDIG_COMP_CNT: 0
	.text
	.p2alignl 6, 3214868480
	.fill 48, 4, 3214868480
	.type	__hip_cuid_232d1291ef0f8c0f,@object ; @__hip_cuid_232d1291ef0f8c0f
	.section	.bss,"aw",@nobits
	.globl	__hip_cuid_232d1291ef0f8c0f
__hip_cuid_232d1291ef0f8c0f:
	.byte	0                               ; 0x0
	.size	__hip_cuid_232d1291ef0f8c0f, 1

	.ident	"AMD clang version 19.0.0git (https://github.com/RadeonOpenCompute/llvm-project roc-6.4.0 25133 c7fe45cf4b819c5991fe208aaa96edf142730f1d)"
	.section	".note.GNU-stack","",@progbits
	.addrsig
	.addrsig_sym __hip_cuid_232d1291ef0f8c0f
	.amdgpu_metadata
---
amdhsa.kernels:
  - .args:
      - .actual_access:  read_only
        .address_space:  global
        .offset:         0
        .size:           8
        .value_kind:     global_buffer
      - .offset:         8
        .size:           8
        .value_kind:     by_value
      - .actual_access:  read_only
        .address_space:  global
        .offset:         16
        .size:           8
        .value_kind:     global_buffer
      - .actual_access:  read_only
        .address_space:  global
        .offset:         24
        .size:           8
        .value_kind:     global_buffer
      - .actual_access:  read_only
        .address_space:  global
        .offset:         32
        .size:           8
        .value_kind:     global_buffer
      - .offset:         40
        .size:           8
        .value_kind:     by_value
      - .actual_access:  read_only
        .address_space:  global
        .offset:         48
        .size:           8
        .value_kind:     global_buffer
      - .actual_access:  read_only
        .address_space:  global
        .offset:         56
        .size:           8
        .value_kind:     global_buffer
      - .offset:         64
        .size:           4
        .value_kind:     by_value
      - .actual_access:  read_only
        .address_space:  global
        .offset:         72
        .size:           8
        .value_kind:     global_buffer
      - .actual_access:  read_only
        .address_space:  global
        .offset:         80
        .size:           8
        .value_kind:     global_buffer
      - .actual_access:  read_only
        .address_space:  global
        .offset:         88
        .size:           8
        .value_kind:     global_buffer
      - .actual_access:  write_only
        .address_space:  global
        .offset:         96
        .size:           8
        .value_kind:     global_buffer
    .group_segment_fixed_size: 0
    .kernarg_segment_align: 8
    .kernarg_segment_size: 104
    .language:       OpenCL C
    .language_version:
      - 2
      - 0
    .max_flat_workgroup_size: 144
    .name:           fft_rtc_back_len3456_factors_6_6_6_4_4_wgs_144_tpt_144_halfLds_dp_op_CI_CI_sbrr_dirReg
    .private_segment_fixed_size: 0
    .sgpr_count:     33
    .sgpr_spill_count: 0
    .symbol:         fft_rtc_back_len3456_factors_6_6_6_4_4_wgs_144_tpt_144_halfLds_dp_op_CI_CI_sbrr_dirReg.kd
    .uniform_work_group_size: 1
    .uses_dynamic_stack: false
    .vgpr_count:     189
    .vgpr_spill_count: 0
    .wavefront_size: 32
    .workgroup_processor_mode: 1
amdhsa.target:   amdgcn-amd-amdhsa--gfx1030
amdhsa.version:
  - 1
  - 2
...

	.end_amdgpu_metadata
